;; amdgpu-corpus repo=ROCm/rocFFT kind=compiled arch=gfx1030 opt=O3
	.text
	.amdgcn_target "amdgcn-amd-amdhsa--gfx1030"
	.amdhsa_code_object_version 6
	.protected	bluestein_single_back_len748_dim1_sp_op_CI_CI ; -- Begin function bluestein_single_back_len748_dim1_sp_op_CI_CI
	.globl	bluestein_single_back_len748_dim1_sp_op_CI_CI
	.p2align	8
	.type	bluestein_single_back_len748_dim1_sp_op_CI_CI,@function
bluestein_single_back_len748_dim1_sp_op_CI_CI: ; @bluestein_single_back_len748_dim1_sp_op_CI_CI
; %bb.0:
	s_load_dwordx4 s[0:3], s[4:5], 0x28
	v_mul_u32_u24_e32 v1, 0x3c4, v0
	v_lshrrev_b32_e32 v1, 16, v1
	v_mad_u64_u32 v[60:61], null, s6, 3, v[1:2]
	v_mov_b32_e32 v61, 0
                                        ; kill: def $vgpr2 killed $sgpr0 killed $exec
	s_waitcnt lgkmcnt(0)
	v_cmp_gt_u64_e32 vcc_lo, s[0:1], v[60:61]
	s_and_saveexec_b32 s0, vcc_lo
	s_cbranch_execz .LBB0_23
; %bb.1:
	v_mul_hi_u32 v2, 0xaaaaaaab, v60
	v_mul_lo_u16 v1, 0x44, v1
	s_clause 0x1
	s_load_dwordx2 s[12:13], s[4:5], 0x0
	s_load_dwordx2 s[14:15], s[4:5], 0x38
	v_sub_nc_u16 v0, v0, v1
	v_lshrrev_b32_e32 v2, 1, v2
	v_and_b32_e32 v93, 0xffff, v0
	v_cmp_gt_u16_e32 vcc_lo, 44, v0
	v_lshl_add_u32 v2, v2, 1, v2
	v_lshlrev_b32_e32 v92, 3, v93
	v_or_b32_e32 v91, 0x2c0, v93
	v_sub_nc_u32_e32 v1, v60, v2
	v_mul_u32_u24_e32 v46, 0x2ec, v1
	v_lshlrev_b32_e32 v94, 3, v46
	s_and_saveexec_b32 s1, vcc_lo
	s_cbranch_execz .LBB0_3
; %bb.2:
	s_load_dwordx2 s[6:7], s[4:5], 0x18
	s_waitcnt lgkmcnt(0)
	v_add_co_u32 v14, s0, s12, v92
	v_add_co_ci_u32_e64 v15, null, s13, 0, s0
	v_lshlrev_b32_e32 v20, 3, v91
	v_add_co_u32 v10, s0, 0x800, v14
	v_add_co_ci_u32_e64 v11, s0, 0, v15, s0
	v_add_co_u32 v14, s0, 0x1000, v14
	v_add_co_ci_u32_e64 v15, s0, 0, v15, s0
	v_add_nc_u32_e32 v59, v94, v92
	v_lshl_add_u32 v73, v93, 3, v94
	v_add_nc_u32_e32 v75, 0x800, v59
	s_load_dwordx4 s[8:11], s[6:7], 0x0
	s_clause 0xa
	global_load_dwordx2 v[0:1], v92, s[12:13] offset:352
	global_load_dwordx2 v[2:3], v92, s[12:13] offset:704
	;; [unrolled: 1-line block ×5, first 2 shown]
	global_load_dwordx2 v[18:19], v92, s[12:13]
	global_load_dwordx2 v[20:21], v20, s[12:13]
	global_load_dwordx2 v[22:23], v[10:11], off offset:64
	global_load_dwordx2 v[24:25], v[10:11], off offset:416
	;; [unrolled: 1-line block ×4, first 2 shown]
	v_add_nc_u32_e32 v74, 0x400, v59
	v_add_nc_u32_e32 v76, 0xc00, v59
	;; [unrolled: 1-line block ×3, first 2 shown]
	s_waitcnt lgkmcnt(0)
	v_mad_u64_u32 v[12:13], null, s10, v60, 0
	v_mad_u64_u32 v[16:17], null, s8, v93, 0
	s_mul_i32 s0, s9, 0x160
	s_mul_hi_u32 s6, s8, 0x160
	s_mul_i32 s7, s8, 0x160
	s_add_i32 s6, s6, s0
	v_mad_u64_u32 v[30:31], null, s11, v60, v[13:14]
	v_mad_u64_u32 v[31:32], null, s8, v91, 0
	v_mov_b32_e32 v13, v30
	v_mov_b32_e32 v30, v32
	v_lshlrev_b64 v[12:13], 3, v[12:13]
	s_waitcnt vmcnt(5)
	v_mad_u64_u32 v[33:34], null, s9, v93, v[17:18]
	s_clause 0x3
	global_load_dwordx2 v[34:35], v[10:11], off offset:1472
	global_load_dwordx2 v[10:11], v[10:11], off offset:1824
	;; [unrolled: 1-line block ×4, first 2 shown]
	v_mov_b32_e32 v17, v33
	v_mad_u64_u32 v[32:33], null, s9, v91, v[30:31]
	v_add_co_u32 v33, s0, s2, v12
	v_lshlrev_b64 v[16:17], 3, v[16:17]
	v_add_co_ci_u32_e64 v40, s0, s3, v13, s0
	v_add_co_u32 v12, s0, v33, v16
	v_add_co_ci_u32_e64 v13, s0, v40, v17, s0
	v_lshlrev_b64 v[16:17], 3, v[31:32]
	v_add_co_u32 v30, s0, v12, s7
	v_add_co_ci_u32_e64 v31, s0, s6, v13, s0
	global_load_dwordx2 v[12:13], v[12:13], off
	v_add_co_u32 v16, s0, v33, v16
	v_add_co_ci_u32_e64 v17, s0, v40, v17, s0
	v_add_co_u32 v32, s0, v30, s7
	v_add_co_ci_u32_e64 v33, s0, s6, v31, s0
	global_load_dwordx2 v[16:17], v[16:17], off
	v_add_co_u32 v40, s0, v32, s7
	v_add_co_ci_u32_e64 v41, s0, s6, v33, s0
	v_add_co_u32 v42, s0, v40, s7
	v_add_co_ci_u32_e64 v43, s0, s6, v41, s0
	s_clause 0x2
	global_load_dwordx2 v[30:31], v[30:31], off
	global_load_dwordx2 v[32:33], v[32:33], off
	;; [unrolled: 1-line block ×3, first 2 shown]
	v_add_co_u32 v44, s0, v42, s7
	v_add_co_ci_u32_e64 v45, s0, s6, v43, s0
	global_load_dwordx2 v[42:43], v[42:43], off
	v_add_co_u32 v47, s0, v44, s7
	v_add_co_ci_u32_e64 v48, s0, s6, v45, s0
	global_load_dwordx2 v[44:45], v[44:45], off
	v_add_co_u32 v49, s0, v47, s7
	v_add_co_ci_u32_e64 v50, s0, s6, v48, s0
	global_load_dwordx2 v[47:48], v[47:48], off
	v_add_co_u32 v51, s0, v49, s7
	v_add_co_ci_u32_e64 v52, s0, s6, v50, s0
	global_load_dwordx2 v[49:50], v[49:50], off
	v_add_co_u32 v53, s0, v51, s7
	v_add_co_ci_u32_e64 v54, s0, s6, v52, s0
	global_load_dwordx2 v[51:52], v[51:52], off
	v_add_co_u32 v55, s0, v53, s7
	v_add_co_ci_u32_e64 v56, s0, s6, v54, s0
	global_load_dwordx2 v[53:54], v[53:54], off
	v_add_co_u32 v57, s0, v55, s7
	v_add_co_ci_u32_e64 v58, s0, s6, v56, s0
	global_load_dwordx2 v[55:56], v[55:56], off
	v_add_co_u32 v61, s0, v57, s7
	v_add_co_ci_u32_e64 v62, s0, s6, v58, s0
	global_load_dwordx2 v[57:58], v[57:58], off
	v_add_co_u32 v63, s0, v61, s7
	v_add_co_ci_u32_e64 v64, s0, s6, v62, s0
	global_load_dwordx2 v[61:62], v[61:62], off
	v_add_co_u32 v65, s0, v63, s7
	v_add_co_ci_u32_e64 v66, s0, s6, v64, s0
	global_load_dwordx2 v[63:64], v[63:64], off
	v_add_co_u32 v67, s0, v65, s7
	v_add_co_ci_u32_e64 v68, s0, s6, v66, s0
	global_load_dwordx2 v[65:66], v[65:66], off
	s_clause 0x1
	global_load_dwordx2 v[69:70], v[14:15], off offset:832
	global_load_dwordx2 v[14:15], v[14:15], off offset:1184
	global_load_dwordx2 v[67:68], v[67:68], off
	s_waitcnt vmcnt(18)
	v_mul_f32_e32 v71, v13, v19
	v_mul_f32_e32 v72, v12, v19
	v_fmac_f32_e32 v71, v12, v18
	v_fma_f32 v72, v13, v18, -v72
	s_waitcnt vmcnt(17)
	v_mul_f32_e32 v19, v17, v21
	v_mul_f32_e32 v21, v16, v21
	ds_write_b64 v73, v[71:72]
	v_fmac_f32_e32 v19, v16, v20
	v_fma_f32 v20, v17, v20, -v21
	s_waitcnt vmcnt(16)
	v_mul_f32_e32 v78, v30, v1
	v_mul_f32_e32 v12, v31, v1
	s_waitcnt vmcnt(15)
	v_mul_f32_e32 v1, v32, v3
	s_waitcnt vmcnt(14)
	v_mul_f32_e32 v16, v40, v5
	v_fma_f32 v13, v31, v0, -v78
	v_fmac_f32_e32 v12, v30, v0
	v_mul_f32_e32 v0, v33, v3
	v_mul_f32_e32 v3, v41, v5
	s_waitcnt vmcnt(13)
	v_mul_f32_e32 v5, v43, v7
	v_mul_f32_e32 v7, v42, v7
	v_fma_f32 v1, v33, v2, -v1
	v_fmac_f32_e32 v0, v32, v2
	v_fmac_f32_e32 v3, v40, v4
	v_fma_f32 v4, v41, v4, -v16
	v_fmac_f32_e32 v5, v42, v6
	v_fma_f32 v6, v43, v6, -v7
	s_waitcnt vmcnt(12)
	v_mul_f32_e32 v7, v44, v9
	v_mul_f32_e32 v2, v45, v9
	ds_write2_b64 v59, v[12:13], v[0:1] offset0:44 offset1:88
	s_waitcnt vmcnt(11)
	v_mul_f32_e32 v1, v47, v23
	ds_write2_b64 v59, v[3:4], v[5:6] offset0:132 offset1:176
	v_fma_f32 v3, v45, v8, -v7
	s_waitcnt vmcnt(10)
	v_mul_f32_e32 v4, v50, v25
	v_mul_f32_e32 v5, v49, v25
	;; [unrolled: 1-line block ×3, first 2 shown]
	v_fmac_f32_e32 v2, v44, v8
	s_waitcnt vmcnt(9)
	v_mul_f32_e32 v6, v52, v27
	v_mul_f32_e32 v7, v51, v27
	v_fmac_f32_e32 v4, v49, v24
	v_fma_f32 v5, v50, v24, -v5
	v_fma_f32 v1, v48, v22, -v1
	v_fmac_f32_e32 v6, v51, v26
	v_fma_f32 v7, v52, v26, -v7
	v_fmac_f32_e32 v0, v47, v22
	ds_write2_b64 v75, v[4:5], v[6:7] offset0:52 offset1:96
	ds_write2_b64 v74, v[2:3], v[0:1] offset0:92 offset1:136
	s_waitcnt vmcnt(8)
	v_mul_f32_e32 v0, v54, v29
	v_mul_f32_e32 v1, v53, v29
	s_waitcnt vmcnt(6)
	v_mul_f32_e32 v4, v58, v11
	v_mul_f32_e32 v5, v57, v11
	;; [unrolled: 1-line block ×4, first 2 shown]
	v_fmac_f32_e32 v0, v53, v28
	s_waitcnt vmcnt(5)
	v_mul_f32_e32 v6, v62, v37
	v_mul_f32_e32 v7, v61, v37
	v_fmac_f32_e32 v4, v57, v10
	v_fma_f32 v5, v58, v10, -v5
	v_fma_f32 v1, v54, v28, -v1
	s_waitcnt vmcnt(4)
	v_mul_f32_e32 v8, v64, v39
	v_mul_f32_e32 v9, v63, v39
	v_fmac_f32_e32 v2, v55, v34
	s_waitcnt vmcnt(2)
	v_mul_f32_e32 v10, v66, v70
	v_mul_f32_e32 v11, v65, v70
	s_waitcnt vmcnt(0)
	v_mul_f32_e32 v12, v68, v15
	v_mul_f32_e32 v13, v67, v15
	v_fma_f32 v3, v56, v34, -v3
	v_fmac_f32_e32 v6, v61, v36
	v_fma_f32 v7, v62, v36, -v7
	v_fmac_f32_e32 v8, v63, v38
	;; [unrolled: 2-line block ×4, first 2 shown]
	v_fma_f32 v13, v68, v14, -v13
	ds_write2_b64 v75, v[0:1], v[2:3] offset0:140 offset1:184
	ds_write2_b64 v76, v[4:5], v[6:7] offset0:100 offset1:144
	;; [unrolled: 1-line block ×4, first 2 shown]
.LBB0_3:
	s_or_b32 exec_lo, exec_lo, s1
	v_mov_b32_e32 v4, 0
	v_mov_b32_e32 v5, 0
	s_waitcnt lgkmcnt(0)
	s_barrier
	buffer_gl0_inv
                                        ; implicit-def: $vgpr18
                                        ; implicit-def: $vgpr8
                                        ; implicit-def: $vgpr12
                                        ; implicit-def: $vgpr44
                                        ; implicit-def: $vgpr22
                                        ; implicit-def: $vgpr26
                                        ; implicit-def: $vgpr34
                                        ; implicit-def: $vgpr30
	s_and_saveexec_b32 s0, vcc_lo
	s_cbranch_execz .LBB0_5
; %bb.4:
	v_lshl_add_u32 v0, v46, 3, v92
	ds_read2_b64 v[4:7], v0 offset1:44
	ds_read2_b64 v[28:31], v0 offset0:88 offset1:132
	v_add_nc_u32_e32 v1, 0x800, v0
	v_add_nc_u32_e32 v2, 0x1000, v0
	ds_read2_b64 v[32:35], v0 offset0:176 offset1:220
	ds_read2_b64 v[24:27], v1 offset0:8 offset1:52
	;; [unrolled: 1-line block ×6, first 2 shown]
	ds_read_b64 v[44:45], v0 offset:5632
.LBB0_5:
	s_or_b32 exec_lo, exec_lo, s0
	s_waitcnt lgkmcnt(0)
	v_sub_f32_e32 v36, v7, v45
	v_add_f32_e32 v70, v44, v6
	v_sub_f32_e32 v37, v6, v44
	v_sub_f32_e32 v41, v29, v15
	v_add_f32_e32 v71, v45, v7
	v_mul_f32_e32 v48, 0xbeb8f4ab, v36
	v_add_f32_e32 v74, v14, v28
	v_sub_f32_e32 v40, v28, v14
	v_mul_f32_e32 v50, 0xbeb8f4ab, v37
	v_mul_f32_e32 v47, 0xbf2c7751, v41
	v_fmamk_f32 v0, v70, 0x3f6eb680, v48
	v_sub_f32_e32 v43, v31, v13
	v_add_f32_e32 v76, v15, v29
	v_mul_f32_e32 v49, 0xbf2c7751, v40
	v_fma_f32 v1, 0x3f6eb680, v71, -v50
	v_fmamk_f32 v2, v74, 0x3f3d2fb0, v47
	v_add_f32_e32 v0, v0, v4
	v_sub_f32_e32 v42, v30, v12
	v_add_f32_e32 v89, v12, v30
	v_mul_f32_e32 v51, 0xbf65296c, v43
	v_sub_f32_e32 v95, v33, v11
	v_fma_f32 v3, 0x3f3d2fb0, v76, -v49
	v_add_f32_e32 v1, v1, v5
	v_add_f32_e32 v0, v2, v0
	;; [unrolled: 1-line block ×3, first 2 shown]
	v_mul_f32_e32 v53, 0xbf65296c, v42
	v_fmamk_f32 v2, v89, 0x3ee437d1, v51
	v_add_f32_e32 v97, v10, v32
	v_mul_f32_e32 v52, 0xbf7ee86f, v95
	v_sub_f32_e32 v130, v32, v10
	v_sub_f32_e32 v139, v35, v9
	v_add_f32_e32 v1, v3, v1
	v_fma_f32 v3, 0x3ee437d1, v90, -v53
	v_add_f32_e32 v0, v2, v0
	v_fmamk_f32 v2, v97, 0x3dbcf732, v52
	v_add_f32_e32 v108, v11, v33
	v_mul_f32_e32 v55, 0xbf7ee86f, v130
	v_add_f32_e32 v105, v8, v34
	v_mul_f32_e32 v54, 0xbf763a35, v139
	v_sub_f32_e32 v140, v34, v8
	v_add_f32_e32 v1, v3, v1
	v_fma_f32 v3, 0x3dbcf732, v108, -v55
	v_add_f32_e32 v0, v2, v0
	v_fmamk_f32 v2, v105, 0xbe8c1d8e, v54
	v_add_f32_e32 v107, v9, v35
	v_mul_f32_e32 v56, 0xbf763a35, v140
	v_sub_f32_e32 v142, v25, v19
	v_add_f32_e32 v1, v3, v1
	v_add_f32_e32 v0, v2, v0
	v_sub_f32_e32 v143, v24, v18
	v_fma_f32 v2, 0xbe8c1d8e, v107, -v56
	v_add_f32_e32 v109, v18, v24
	v_mul_f32_e32 v57, 0xbf4c4adb, v142
	v_sub_f32_e32 v146, v27, v17
	v_add_f32_e32 v110, v19, v25
	v_mul_f32_e32 v58, 0xbf4c4adb, v143
	v_add_f32_e32 v1, v2, v1
	v_fmamk_f32 v2, v109, 0xbf1a4643, v57
	v_sub_f32_e32 v148, v26, v16
	v_add_f32_e32 v118, v16, v26
	v_mul_f32_e32 v59, 0xbf06c442, v146
	v_fma_f32 v3, 0xbf1a4643, v110, -v58
	v_add_f32_e32 v119, v17, v27
	v_mul_f32_e32 v67, 0xbf06c442, v148
	v_add_f32_e32 v0, v2, v0
	v_fmamk_f32 v2, v118, 0xbf59a7d5, v59
	v_mul_f32_e32 v77, 0xbf2c7751, v36
	v_add_f32_e32 v1, v3, v1
	v_fma_f32 v3, 0xbf59a7d5, v119, -v67
	v_mul_f32_e32 v78, 0xbf7ee86f, v41
	v_add_f32_e32 v0, v2, v0
	v_fmamk_f32 v2, v70, 0x3f3d2fb0, v77
	v_mul_f32_e32 v85, 0xbf2c7751, v37
	v_add_f32_e32 v1, v3, v1
	v_fmamk_f32 v3, v74, 0x3dbcf732, v78
	v_mul_f32_e32 v87, 0xbf7ee86f, v40
	v_add_f32_e32 v2, v2, v4
	v_fma_f32 v38, 0x3f3d2fb0, v71, -v85
	v_mul_f32_e32 v80, 0xbf4c4adb, v43
	v_sub_f32_e32 v162, v21, v23
	v_mul_f32_e32 v83, 0xbf4c4adb, v42
	v_add_f32_e32 v2, v3, v2
	v_add_f32_e32 v3, v38, v5
	v_fma_f32 v38, 0x3dbcf732, v76, -v87
	v_fmamk_f32 v39, v89, 0xbf1a4643, v80
	v_mul_f32_e32 v81, 0xbe3c28d5, v95
	v_sub_f32_e32 v161, v20, v22
	v_add_f32_e32 v121, v22, v20
	v_mul_f32_e32 v68, 0xbe3c28d5, v162
	v_add_f32_e32 v3, v38, v3
	v_add_f32_e32 v2, v39, v2
	v_fma_f32 v38, 0xbf1a4643, v90, -v83
	v_fmamk_f32 v39, v97, 0xbf7ba420, v81
	v_mul_f32_e32 v84, 0xbe3c28d5, v130
	v_mul_f32_e32 v82, 0x3f06c442, v139
	v_add_f32_e32 v122, v23, v21
	v_mul_f32_e32 v69, 0xbe3c28d5, v161
	v_fmamk_f32 v61, v121, 0xbf7ba420, v68
	v_add_f32_e32 v3, v38, v3
	v_add_f32_e32 v38, v39, v2
	v_fma_f32 v39, 0xbf7ba420, v108, -v84
	v_fmamk_f32 v63, v105, 0xbf59a7d5, v82
	v_mul_f32_e32 v86, 0x3f06c442, v140
	v_mul_f32_e32 v72, 0x3f763a35, v142
	v_fma_f32 v62, 0xbf7ba420, v122, -v69
	v_add_f32_e32 v2, v61, v0
	v_add_f32_e32 v0, v39, v3
	;; [unrolled: 1-line block ×3, first 2 shown]
	v_fma_f32 v39, 0xbf59a7d5, v107, -v86
	v_mul_f32_e32 v88, 0x3f763a35, v143
	v_fmamk_f32 v61, v109, 0xbe8c1d8e, v72
	v_mul_f32_e32 v73, 0x3f65296c, v146
	v_add_f32_e32 v3, v62, v1
	v_add_f32_e32 v0, v39, v0
	v_fma_f32 v1, 0xbe8c1d8e, v110, -v88
	v_add_f32_e32 v38, v61, v38
	v_fmamk_f32 v39, v118, 0x3ee437d1, v73
	v_mul_f32_e32 v75, 0x3f65296c, v148
	v_mul_f32_e32 v100, 0xbf65296c, v36
	;; [unrolled: 1-line block ×3, first 2 shown]
	v_add_f32_e32 v0, v1, v0
	v_add_f32_e32 v1, v39, v38
	v_fma_f32 v38, 0x3ee437d1, v119, -v75
	v_fmamk_f32 v39, v70, 0x3ee437d1, v100
	v_mul_f32_e32 v103, 0xbf4c4adb, v41
	v_fma_f32 v61, 0x3ee437d1, v71, -v111
	v_mul_f32_e32 v112, 0xbf4c4adb, v40
	v_add_f32_e32 v38, v38, v0
	v_add_f32_e32 v0, v39, v4
	v_fmamk_f32 v39, v74, 0xbf1a4643, v103
	v_add_f32_e32 v61, v61, v5
	v_fma_f32 v62, 0xbf1a4643, v76, -v112
	v_mul_f32_e32 v104, 0x3e3c28d5, v43
	v_mul_f32_e32 v113, 0x3e3c28d5, v42
	v_mul_f32_e32 v79, 0x3eb8f4ab, v162
	v_add_f32_e32 v0, v39, v0
	v_add_f32_e32 v39, v62, v61
	v_fmamk_f32 v61, v89, 0xbf7ba420, v104
	v_fma_f32 v62, 0xbf7ba420, v90, -v113
	v_mul_f32_e32 v102, 0x3f763a35, v95
	v_mul_f32_e32 v114, 0x3f763a35, v130
	v_fmamk_f32 v63, v121, 0x3f6eb680, v79
	v_add_f32_e32 v61, v61, v0
	v_add_f32_e32 v39, v62, v39
	v_fmamk_f32 v62, v97, 0xbe8c1d8e, v102
	v_fma_f32 v64, 0xbe8c1d8e, v108, -v114
	v_mul_f32_e32 v98, 0x3f2c7751, v139
	v_mul_f32_e32 v116, 0x3f2c7751, v140
	v_add_f32_e32 v0, v63, v1
	v_add_f32_e32 v1, v62, v61
	;; [unrolled: 1-line block ×3, first 2 shown]
	v_fmamk_f32 v61, v105, 0x3f3d2fb0, v98
	v_fma_f32 v62, 0x3f3d2fb0, v107, -v116
	v_mul_f32_e32 v99, 0xbeb8f4ab, v142
	v_mul_f32_e32 v115, 0xbeb8f4ab, v143
	;; [unrolled: 1-line block ×3, first 2 shown]
	v_add_f32_e32 v1, v61, v1
	v_add_f32_e32 v39, v62, v39
	v_fmamk_f32 v61, v109, 0x3f6eb680, v99
	v_mul_f32_e32 v101, 0xbf7ee86f, v146
	v_fma_f32 v62, 0x3f6eb680, v110, -v115
	v_mul_f32_e32 v117, 0xbf7ee86f, v148
	v_fma_f32 v63, 0x3f6eb680, v122, -v96
	v_add_f32_e32 v61, v61, v1
	v_fmamk_f32 v64, v118, 0x3dbcf732, v101
	v_add_f32_e32 v39, v62, v39
	v_fma_f32 v62, 0x3dbcf732, v119, -v117
	v_mul_f32_e32 v124, 0xbf7ee86f, v36
	v_mul_f32_e32 v136, 0xbf7ee86f, v37
	v_add_f32_e32 v1, v63, v38
	v_add_f32_e32 v38, v64, v61
	;; [unrolled: 1-line block ×3, first 2 shown]
	v_mul_f32_e32 v106, 0xbf06c442, v162
	v_fmamk_f32 v61, v70, 0x3dbcf732, v124
	v_mul_f32_e32 v127, 0xbe3c28d5, v41
	v_fma_f32 v62, 0x3dbcf732, v71, -v136
	v_mul_f32_e32 v137, 0xbe3c28d5, v40
	v_fmamk_f32 v63, v121, 0xbf59a7d5, v106
	v_add_f32_e32 v64, v61, v4
	v_fmamk_f32 v65, v74, 0xbf7ba420, v127
	v_add_f32_e32 v62, v62, v5
	v_fma_f32 v66, 0xbf7ba420, v76, -v137
	v_mul_f32_e32 v123, 0x3f763a35, v43
	v_mul_f32_e32 v138, 0x3f763a35, v42
	v_add_f32_e32 v61, v63, v38
	v_add_f32_e32 v38, v65, v64
	;; [unrolled: 1-line block ×3, first 2 shown]
	v_fmamk_f32 v63, v89, 0xbe8c1d8e, v123
	v_fma_f32 v64, 0xbe8c1d8e, v90, -v138
	v_mul_f32_e32 v125, 0x3eb8f4ab, v95
	v_mul_f32_e32 v135, 0x3eb8f4ab, v130
	;; [unrolled: 1-line block ×3, first 2 shown]
	v_add_f32_e32 v38, v63, v38
	v_add_f32_e32 v62, v64, v62
	v_fmamk_f32 v63, v97, 0x3f6eb680, v125
	v_fma_f32 v64, 0x3f6eb680, v108, -v135
	v_mul_f32_e32 v126, 0xbf65296c, v139
	v_mul_f32_e32 v131, 0xbf65296c, v140
	v_fma_f32 v65, 0xbf59a7d5, v122, -v120
	v_add_f32_e32 v38, v63, v38
	v_add_f32_e32 v63, v64, v62
	v_fmamk_f32 v64, v105, 0x3ee437d1, v126
	v_fma_f32 v66, 0x3ee437d1, v107, -v131
	v_mul_f32_e32 v129, 0xbf06c442, v142
	v_mul_f32_e32 v132, 0xbf06c442, v143
	v_add_f32_e32 v62, v65, v39
	v_add_f32_e32 v38, v64, v38
	;; [unrolled: 1-line block ×3, first 2 shown]
	v_fmamk_f32 v63, v109, 0xbf59a7d5, v129
	v_fma_f32 v64, 0xbf59a7d5, v110, -v132
	v_mul_f32_e32 v128, 0x3f4c4adb, v146
	v_mul_f32_e32 v134, 0x3f4c4adb, v148
	;; [unrolled: 1-line block ×3, first 2 shown]
	v_add_f32_e32 v38, v63, v38
	v_add_f32_e32 v39, v64, v39
	v_fmamk_f32 v63, v118, 0xbf1a4643, v128
	v_fma_f32 v64, 0xbf1a4643, v119, -v134
	v_fmamk_f32 v65, v70, 0xbe8c1d8e, v144
	v_mul_f32_e32 v145, 0x3f06c442, v41
	v_mul_f32_e32 v155, 0xbf763a35, v37
	v_add_f32_e32 v38, v63, v38
	v_add_f32_e32 v39, v64, v39
	;; [unrolled: 1-line block ×3, first 2 shown]
	v_fmamk_f32 v64, v74, 0xbf59a7d5, v145
	v_fma_f32 v65, 0xbe8c1d8e, v71, -v155
	v_mul_f32_e32 v157, 0x3f06c442, v40
	v_mul_f32_e32 v147, 0x3f2c7751, v43
	;; [unrolled: 1-line block ×3, first 2 shown]
	v_add_f32_e32 v63, v64, v63
	v_add_f32_e32 v64, v65, v5
	v_fma_f32 v65, 0xbf59a7d5, v76, -v157
	v_fmamk_f32 v66, v89, 0x3f3d2fb0, v147
	v_mul_f32_e32 v153, 0x3f2c7751, v42
	v_mul_f32_e32 v149, 0xbf65296c, v95
	v_fmamk_f32 v141, v121, 0x3f3d2fb0, v133
	v_add_f32_e32 v64, v65, v64
	v_add_f32_e32 v65, v66, v63
	v_fma_f32 v66, 0x3f3d2fb0, v90, -v153
	v_fmamk_f32 v150, v97, 0x3ee437d1, v149
	v_mul_f32_e32 v154, 0xbf65296c, v130
	v_mul_f32_e32 v151, 0xbe3c28d5, v139
	v_add_f32_e32 v63, v141, v38
	v_add_f32_e32 v38, v66, v64
	;; [unrolled: 1-line block ×3, first 2 shown]
	v_fma_f32 v65, 0x3ee437d1, v108, -v154
	v_fmamk_f32 v66, v105, 0xbf7ba420, v151
	v_mul_f32_e32 v156, 0xbe3c28d5, v140
	v_mul_f32_e32 v150, 0x3f7ee86f, v142
	;; [unrolled: 1-line block ×3, first 2 shown]
	v_add_f32_e32 v38, v65, v38
	v_add_f32_e32 v64, v66, v64
	v_fma_f32 v65, 0xbf7ba420, v107, -v156
	v_fmamk_f32 v66, v109, 0x3dbcf732, v150
	v_mul_f32_e32 v141, 0x3f2c7751, v161
	v_mul_f32_e32 v152, 0xbeb8f4ab, v146
	v_mul_f32_e32 v172, 0xbf4c4adb, v37
	v_add_f32_e32 v38, v65, v38
	v_add_f32_e32 v65, v66, v64
	v_fma_f32 v66, 0x3dbcf732, v110, -v158
	v_fma_f32 v159, 0x3f3d2fb0, v122, -v141
	v_fmamk_f32 v160, v118, 0x3f6eb680, v152
	v_mul_f32_e32 v170, 0xbf4c4adb, v36
	v_mul_f32_e32 v174, 0x3f763a35, v40
	v_add_f32_e32 v38, v66, v38
	v_fma_f32 v66, 0xbf1a4643, v71, -v172
	v_add_f32_e32 v64, v159, v39
	v_add_f32_e32 v39, v160, v65
	v_fmamk_f32 v65, v70, 0xbf1a4643, v170
	v_mul_f32_e32 v171, 0x3f763a35, v41
	v_mul_f32_e32 v159, 0xbeb8f4ab, v148
	v_add_f32_e32 v66, v66, v5
	v_fma_f32 v163, 0xbe8c1d8e, v76, -v174
	v_mul_f32_e32 v175, 0xbeb8f4ab, v42
	v_add_f32_e32 v65, v65, v4
	v_fmamk_f32 v160, v74, 0xbe8c1d8e, v171
	v_mul_f32_e32 v168, 0xbeb8f4ab, v43
	v_fma_f32 v164, 0x3f6eb680, v119, -v159
	v_add_f32_e32 v66, v163, v66
	v_fma_f32 v163, 0x3f6eb680, v90, -v175
	v_mul_f32_e32 v176, 0xbf06c442, v130
	v_add_f32_e32 v65, v160, v65
	v_fmamk_f32 v160, v89, 0x3f6eb680, v168
	v_mul_f32_e32 v165, 0xbf06c442, v95
	v_add_f32_e32 v38, v164, v38
	v_add_f32_e32 v66, v163, v66
	v_fma_f32 v164, 0xbf59a7d5, v108, -v176
	v_mul_f32_e32 v177, 0x3f7ee86f, v140
	v_add_f32_e32 v65, v160, v65
	v_fmamk_f32 v163, v97, 0xbf59a7d5, v165
	v_mul_f32_e32 v166, 0x3f7ee86f, v139
	v_add_f32_e32 v66, v164, v66
	v_fma_f32 v164, 0x3dbcf732, v107, -v177
	v_mul_f32_e32 v179, 0xbf2c7751, v143
	v_add_f32_e32 v65, v163, v65
	v_fmamk_f32 v163, v105, 0x3dbcf732, v166
	v_mul_f32_e32 v167, 0xbf2c7751, v142
	v_add_f32_e32 v66, v164, v66
	v_fma_f32 v173, 0x3f3d2fb0, v110, -v179
	v_mul_f32_e32 v178, 0xbe3c28d5, v148
	v_mul_f32_e32 v160, 0xbf4c4adb, v162
	v_add_f32_e32 v65, v163, v65
	v_fmamk_f32 v164, v109, 0x3f3d2fb0, v167
	v_mul_f32_e32 v169, 0xbe3c28d5, v146
	v_mul_f32_e32 v163, 0xbf4c4adb, v161
	v_add_f32_e32 v66, v173, v66
	v_fma_f32 v182, 0xbf7ba420, v119, -v178
	v_mul_f32_e32 v183, 0xbf06c442, v36
	v_fmamk_f32 v180, v121, 0xbf1a4643, v160
	v_add_f32_e32 v65, v164, v65
	v_fmamk_f32 v181, v118, 0xbf7ba420, v169
	v_fma_f32 v185, 0xbf1a4643, v122, -v163
	v_add_f32_e32 v196, v182, v66
	v_fmamk_f32 v66, v70, 0xbf59a7d5, v183
	v_mul_f32_e32 v184, 0x3f65296c, v41
	v_mul_f32_e32 v192, 0xbf06c442, v37
	v_add_f32_e32 v189, v181, v65
	v_add_f32_e32 v65, v180, v39
	;; [unrolled: 1-line block ×3, first 2 shown]
	v_fmamk_f32 v180, v74, 0x3ee437d1, v184
	v_mul_f32_e32 v187, 0xbf7ee86f, v43
	v_add_f32_e32 v66, v185, v38
	v_fma_f32 v38, 0xbf59a7d5, v71, -v192
	v_mul_f32_e32 v193, 0x3f65296c, v40
	v_add_f32_e32 v39, v180, v39
	v_fmamk_f32 v180, v89, 0x3dbcf732, v187
	v_mul_f32_e32 v186, 0x3f4c4adb, v95
	v_add_f32_e32 v38, v38, v5
	v_fma_f32 v181, 0x3ee437d1, v76, -v193
	v_mul_f32_e32 v194, 0xbf7ee86f, v42
	v_add_f32_e32 v39, v180, v39
	v_fmamk_f32 v180, v97, 0xbf1a4643, v186
	v_mul_f32_e32 v185, 0xbeb8f4ab, v139
	v_add_f32_e32 v38, v181, v38
	v_fma_f32 v181, 0x3dbcf732, v90, -v194
	v_mul_f32_e32 v195, 0x3f4c4adb, v130
	v_add_f32_e32 v39, v180, v39
	v_fmamk_f32 v180, v105, 0x3f6eb680, v185
	v_mul_f32_e32 v182, 0xbe3c28d5, v142
	v_add_f32_e32 v38, v181, v38
	v_fma_f32 v188, 0xbf1a4643, v108, -v195
	v_mul_f32_e32 v191, 0xbeb8f4ab, v140
	v_mul_f32_e32 v164, 0x3f65296c, v162
	;; [unrolled: 1-line block ×3, first 2 shown]
	v_add_f32_e32 v39, v180, v39
	v_fmamk_f32 v180, v109, 0xbf7ba420, v182
	v_mul_f32_e32 v181, 0x3f2c7751, v146
	v_add_f32_e32 v38, v188, v38
	v_fma_f32 v188, 0x3f6eb680, v107, -v191
	v_mul_f32_e32 v190, 0xbe3c28d5, v143
	v_fmamk_f32 v197, v121, 0x3ee437d1, v164
	v_fma_f32 v198, 0x3ee437d1, v122, -v173
	v_add_f32_e32 v39, v180, v39
	v_fmamk_f32 v199, v118, 0x3f3d2fb0, v181
	v_mul_f32_e32 v180, 0xbf763a35, v162
	v_add_f32_e32 v200, v188, v38
	v_fma_f32 v201, 0xbf7ba420, v110, -v190
	v_mul_f32_e32 v188, 0x3f2c7751, v148
	v_mul_f32_e32 v37, 0xbe3c28d5, v37
	v_add_f32_e32 v38, v197, v189
	v_add_f32_e32 v189, v199, v39
	v_fmamk_f32 v197, v121, 0xbe8c1d8e, v180
	v_add_f32_e32 v199, v201, v200
	v_fma_f32 v200, 0x3f3d2fb0, v119, -v188
	v_mul_f32_e32 v201, 0xbe3c28d5, v36
	v_add_f32_e32 v39, v198, v196
	v_fmamk_f32 v198, v71, 0xbf7ba420, v37
	v_mul_f32_e32 v40, 0x3eb8f4ab, v40
	v_add_f32_e32 v36, v197, v189
	v_add_f32_e32 v196, v200, v199
	v_fma_f32 v197, 0xbf7ba420, v70, -v201
	v_mul_f32_e32 v41, 0x3eb8f4ab, v41
	v_add_f32_e32 v198, v198, v5
	v_fmamk_f32 v200, v76, 0x3f6eb680, v40
	v_mul_f32_e32 v42, 0xbf06c442, v42
	v_fmac_f32_e32 v201, 0xbf7ba420, v70
	v_fma_f32 v37, 0xbf7ba420, v71, -v37
	v_add_f32_e32 v197, v197, v4
	v_fma_f32 v199, 0x3f6eb680, v74, -v41
	v_mul_f32_e32 v43, 0xbf06c442, v43
	v_add_f32_e32 v198, v200, v198
	v_fmamk_f32 v200, v90, 0xbf59a7d5, v42
	v_mul_f32_e32 v130, 0x3f2c7751, v130
	v_add_f32_e32 v201, v201, v4
	v_fmac_f32_e32 v41, 0x3f6eb680, v74
	v_add_f32_e32 v37, v37, v5
	v_fma_f32 v40, 0x3f6eb680, v76, -v40
	v_add_f32_e32 v197, v199, v197
	v_fma_f32 v199, 0xbf59a7d5, v89, -v43
	v_mul_f32_e32 v95, 0x3f2c7751, v95
	v_add_f32_e32 v198, v200, v198
	v_fmamk_f32 v200, v108, 0x3f3d2fb0, v130
	v_mul_f32_e32 v140, 0xbf4c4adb, v140
	v_add_f32_e32 v41, v41, v201
	v_fmac_f32_e32 v43, 0xbf59a7d5, v89
	v_add_f32_e32 v37, v40, v37
	;; [unrolled: 10-line block ×4, first 2 shown]
	v_fma_f32 v40, 0xbf1a4643, v107, -v140
	v_add_f32_e32 v197, v199, v197
	v_fma_f32 v199, 0x3ee437d1, v109, -v142
	v_add_f32_e32 v198, v200, v198
	v_mul_f32_e32 v146, 0xbf763a35, v146
	v_fmamk_f32 v130, v119, 0xbe8c1d8e, v42
	v_add_f32_e32 v41, v139, v41
	v_fmac_f32_e32 v142, 0x3ee437d1, v109
	v_add_f32_e32 v37, v40, v37
	v_fma_f32 v40, 0x3ee437d1, v110, -v143
	s_load_dwordx2 s[2:3], s[4:5], 0x20
	v_mul_f32_e32 v189, 0xbf763a35, v161
	v_add_f32_e32 v197, v199, v197
	v_fma_f32 v43, 0xbe8c1d8e, v118, -v146
	v_add_f32_e32 v95, v130, v198
	v_mul_f32_e32 v130, 0x3f7ee86f, v162
	v_mul_f32_e32 v139, 0x3f7ee86f, v161
	v_add_f32_e32 v41, v142, v41
	v_fmac_f32_e32 v146, 0xbe8c1d8e, v118
	v_add_f32_e32 v37, v40, v37
	v_fma_f32 v40, 0xbe8c1d8e, v119, -v42
	v_fma_f32 v202, 0xbe8c1d8e, v122, -v189
	v_add_f32_e32 v43, v43, v197
	v_fma_f32 v42, 0x3dbcf732, v121, -v130
	v_fmamk_f32 v140, v122, 0x3dbcf732, v139
	v_add_f32_e32 v142, v146, v41
	v_fmac_f32_e32 v130, 0x3dbcf732, v121
	v_add_f32_e32 v143, v40, v37
	v_fma_f32 v139, 0x3dbcf732, v122, -v139
	v_add_f32_e32 v37, v202, v196
	v_add_f32_e32 v40, v42, v43
	;; [unrolled: 1-line block ×5, first 2 shown]
	v_mul_lo_u16 v95, v93, 17
	s_waitcnt lgkmcnt(0)
	s_barrier
	buffer_gl0_inv
	s_and_saveexec_b32 s0, vcc_lo
	s_cbranch_execz .LBB0_7
; %bb.6:
	v_mul_f32_e32 v139, 0x3f6eb680, v71
	v_mul_f32_e32 v142, 0x3f3d2fb0, v71
	;; [unrolled: 1-line block ×14, first 2 shown]
	v_add_f32_e32 v71, v192, v71
	v_mul_f32_e32 v212, 0x3ee437d1, v90
	v_mul_f32_e32 v214, 0xbf1a4643, v90
	;; [unrolled: 1-line block ×7, first 2 shown]
	v_add_f32_e32 v71, v71, v5
	v_add_f32_e32 v76, v193, v76
	v_mul_f32_e32 v224, 0x3dbcf732, v108
	v_mul_f32_e32 v226, 0xbf7ba420, v108
	;; [unrolled: 1-line block ×7, first 2 shown]
	v_add_f32_e32 v71, v76, v71
	v_add_f32_e32 v76, v194, v90
	v_mul_f32_e32 v199, 0xbf59a7d5, v70
	v_mul_f32_e32 v130, 0x3f6eb680, v70
	;; [unrolled: 1-line block ×4, first 2 shown]
	v_add_f32_e32 v71, v76, v71
	v_add_f32_e32 v76, v195, v108
	v_mul_f32_e32 v148, 0x3dbcf732, v70
	v_mul_f32_e32 v162, 0xbe8c1d8e, v70
	;; [unrolled: 1-line block ×17, first 2 shown]
	v_add_f32_e32 v71, v76, v71
	v_sub_f32_e32 v76, v199, v183
	v_mul_f32_e32 v211, 0x3ee437d1, v89
	v_mul_f32_e32 v213, 0xbf1a4643, v89
	;; [unrolled: 1-line block ×15, first 2 shown]
	v_add_f32_e32 v107, v191, v107
	v_sub_f32_e32 v74, v74, v184
	v_add_f32_e32 v76, v76, v4
	v_mul_f32_e32 v247, 0xbf1a4643, v110
	v_mul_f32_e32 v249, 0xbe8c1d8e, v110
	v_add_f32_e32 v71, v107, v71
	v_add_f32_e32 v107, v190, v109
	;; [unrolled: 1-line block ×3, first 2 shown]
	v_sub_f32_e32 v76, v89, v187
	v_mul_f32_e32 v250, 0x3f6eb680, v110
	v_mul_f32_e32 v252, 0xbf59a7d5, v110
	v_mul_f32_e32 v253, 0x3dbcf732, v110
	v_mul_f32_e32 v90, 0x3f3d2fb0, v110
	v_mul_f32_e32 v110, 0xbf59a7d5, v118
	v_mul_f32_e32 v195, 0xbf59a7d5, v119
	v_mul_f32_e32 v255, 0x3ee437d1, v118
	v_mul_f32_e32 v183, 0x3ee437d1, v119
	v_mul_f32_e32 v191, 0x3dbcf732, v118
	v_mul_f32_e32 v184, 0x3dbcf732, v119
	v_mul_f32_e32 v199, 0xbf1a4643, v118
	v_mul_f32_e32 v109, 0xbf1a4643, v119
	v_mul_f32_e32 v187, 0x3f6eb680, v118
	v_mul_f32_e32 v190, 0x3f6eb680, v119
	v_add_f32_e32 v71, v107, v71
	v_mul_f32_e32 v107, 0xbf7ba420, v118
	v_add_f32_e32 v74, v76, v74
	v_mul_f32_e32 v76, 0xbf7ba420, v119
	v_mul_f32_e32 v89, 0x3f3d2fb0, v118
	v_mul_f32_e32 v118, 0x3f3d2fb0, v119
	v_add_f32_e32 v119, v172, v198
	v_mul_f32_e32 v223, 0x3dbcf732, v97
	v_mul_f32_e32 v225, 0xbf7ba420, v97
	;; [unrolled: 1-line block ×7, first 2 shown]
	v_add_f32_e32 v174, v174, v210
	v_add_f32_e32 v119, v119, v5
	v_mul_f32_e32 v235, 0xbe8c1d8e, v105
	v_mul_f32_e32 v237, 0xbf59a7d5, v105
	;; [unrolled: 1-line block ×7, first 2 shown]
	v_sub_f32_e32 v97, v97, v186
	v_add_f32_e32 v119, v174, v119
	v_add_f32_e32 v175, v175, v222
	v_mul_f32_e32 v186, 0xbf7ba420, v122
	v_sub_f32_e32 v105, v105, v185
	v_add_f32_e32 v74, v97, v74
	v_mul_f32_e32 v97, 0x3f6eb680, v122
	v_mul_f32_e32 v174, 0xbf59a7d5, v122
	v_add_f32_e32 v118, v188, v118
	v_mul_f32_e32 v188, 0x3f3d2fb0, v122
	v_add_f32_e32 v119, v175, v119
	;; [unrolled: 2-line block ×3, first 2 shown]
	v_sub_f32_e32 v108, v108, v182
	v_mul_f32_e32 v182, 0x3ee437d1, v122
	v_mul_f32_e32 v122, 0xbe8c1d8e, v122
	v_add_f32_e32 v74, v105, v74
	v_add_f32_e32 v119, v176, v119
	;; [unrolled: 1-line block ×5, first 2 shown]
	v_sub_f32_e32 v77, v140, v77
	v_mul_f32_e32 v172, 0xbf7ba420, v121
	v_mul_f32_e32 v198, 0x3f6eb680, v121
	;; [unrolled: 1-line block ×7, first 2 shown]
	v_add_f32_e32 v74, v108, v74
	v_sub_f32_e32 v89, v89, v181
	v_add_f32_e32 v108, v176, v119
	v_add_f32_e32 v119, v179, v90
	;; [unrolled: 1-line block ×3, first 2 shown]
	v_sub_f32_e32 v71, v197, v170
	v_add_f32_e32 v77, v77, v4
	v_sub_f32_e32 v78, v201, v78
	v_add_f32_e32 v74, v89, v74
	;; [unrolled: 2-line block ×3, first 2 shown]
	v_add_f32_e32 v76, v178, v76
	v_add_f32_e32 v71, v71, v4
	v_sub_f32_e32 v118, v209, v171
	v_add_f32_e32 v85, v85, v142
	v_add_f32_e32 v77, v78, v77
	v_sub_f32_e32 v78, v213, v80
	v_add_f32_e32 v89, v89, v74
	v_add_f32_e32 v74, v155, v196
	;; [unrolled: 1-line block ×5, first 2 shown]
	v_sub_f32_e32 v119, v221, v168
	v_add_f32_e32 v85, v85, v5
	v_add_f32_e32 v87, v87, v202
	v_add_f32_e32 v77, v78, v77
	v_sub_f32_e32 v78, v225, v81
	v_add_f32_e32 v7, v7, v5
	v_add_f32_e32 v6, v6, v4
	v_add_f32_e32 v74, v74, v5
	v_add_f32_e32 v121, v157, v208
	v_add_f32_e32 v71, v108, v76
	v_sub_f32_e32 v76, v162, v144
	v_add_f32_e32 v108, v119, v118
	v_sub_f32_e32 v118, v233, v165
	v_add_f32_e32 v85, v87, v85
	v_add_f32_e32 v83, v83, v214
	v_add_f32_e32 v77, v78, v77
	v_sub_f32_e32 v78, v237, v82
	v_add_f32_e32 v7, v29, v7
	v_add_f32_e32 v6, v28, v6
	v_add_f32_e32 v74, v121, v74
	v_add_f32_e32 v119, v153, v220
	v_add_f32_e32 v76, v76, v4
	v_sub_f32_e32 v121, v207, v145
	v_add_f32_e32 v108, v118, v108
	;; [unrolled: 12-line block ×4, first 2 shown]
	v_sub_f32_e32 v107, v107, v169
	v_add_f32_e32 v83, v84, v83
	v_add_f32_e32 v84, v88, v249
	v_add_f32_e32 v28, v30, v28
	v_add_f32_e32 v7, v35, v7
	v_add_f32_e32 v30, v34, v31
	v_add_f32_e32 v74, v119, v74
	v_add_f32_e32 v118, v158, v253
	v_add_f32_e32 v76, v121, v76
	v_sub_f32_e32 v119, v243, v151
	v_add_f32_e32 v121, v107, v108
	v_add_f32_e32 v107, v136, v161
	v_add_f32_e32 v82, v84, v83
	v_add_f32_e32 v75, v75, v183
	v_add_f32_e32 v7, v25, v7
	v_add_f32_e32 v24, v24, v30
	v_add_f32_e32 v74, v118, v74
	v_add_f32_e32 v108, v159, v190
	v_add_f32_e32 v76, v119, v76
	v_sub_f32_e32 v118, v194, v150
	v_add_f32_e32 v107, v107, v5
	;; [unrolled: 10-line block ×3, first 2 shown]
	v_add_f32_e32 v119, v138, v218
	v_sub_f32_e32 v124, v148, v124
	v_add_f32_e32 v111, v111, v146
	v_sub_f32_e32 v100, v143, v100
	v_add_f32_e32 v6, v72, v29
	v_add_f32_e32 v29, v50, v139
	v_sub_f32_e32 v32, v130, v48
	v_add_f32_e32 v7, v21, v7
	v_add_f32_e32 v20, v20, v24
	;; [unrolled: 1-line block ×7, first 2 shown]
	v_sub_f32_e32 v119, v205, v127
	v_add_f32_e32 v111, v111, v5
	v_add_f32_e32 v100, v100, v4
	;; [unrolled: 1-line block ×5, first 2 shown]
	v_sub_f32_e32 v29, v70, v47
	v_add_f32_e32 v7, v23, v7
	v_add_f32_e32 v20, v22, v20
	;; [unrolled: 1-line block ×5, first 2 shown]
	v_sub_f32_e32 v119, v217, v123
	v_add_f32_e32 v112, v112, v204
	v_sub_f32_e32 v103, v203, v103
	v_add_f32_e32 v5, v25, v5
	v_add_f32_e32 v25, v53, v212
	;; [unrolled: 1-line block ×3, first 2 shown]
	v_sub_f32_e32 v21, v211, v51
	v_add_f32_e32 v7, v17, v7
	v_add_f32_e32 v16, v16, v20
	;; [unrolled: 1-line block ×5, first 2 shown]
	v_sub_f32_e32 v119, v229, v125
	v_add_f32_e32 v111, v112, v111
	v_add_f32_e32 v112, v113, v216
	;; [unrolled: 1-line block ×3, first 2 shown]
	v_sub_f32_e32 v103, v215, v104
	v_add_f32_e32 v5, v25, v5
	v_add_f32_e32 v24, v55, v224
	;; [unrolled: 1-line block ×3, first 2 shown]
	v_sub_f32_e32 v21, v223, v52
	v_add_f32_e32 v7, v19, v7
	v_add_f32_e32 v16, v18, v16
	v_sub_f32_e32 v105, v105, v160
	v_add_f32_e32 v76, v107, v76
	v_add_f32_e32 v109, v134, v109
	v_add_f32_e32 v113, v119, v118
	v_sub_f32_e32 v118, v241, v126
	v_add_f32_e32 v111, v112, v111
	;; [unrolled: 4-line block ×4, first 2 shown]
	v_add_f32_e32 v8, v8, v16
	v_add_f32_e32 v107, v105, v74
	;; [unrolled: 1-line block ×4, first 2 shown]
	v_sub_f32_e32 v105, v251, v129
	v_add_f32_e32 v109, v112, v111
	v_add_f32_e32 v111, v116, v240
	v_add_f32_e32 v100, v102, v100
	v_sub_f32_e32 v98, v239, v98
	v_add_f32_e32 v5, v17, v5
	v_add_f32_e32 v17, v58, v247
	v_add_f32_e32 v4, v20, v4
	;; [unrolled: 4-line block ×6, first 2 shown]
	v_add_f32_e32 v76, v111, v109
	v_add_f32_e32 v109, v117, v184
	;; [unrolled: 1-line block ×3, first 2 shown]
	v_sub_f32_e32 v85, v191, v101
	v_add_f32_e32 v5, v16, v5
	v_add_f32_e32 v10, v69, v186
	;; [unrolled: 1-line block ×3, first 2 shown]
	v_sub_f32_e32 v9, v172, v68
	v_add_f32_e32 v11, v15, v7
	v_add_f32_e32 v12, v14, v8
	v_and_b32_e32 v13, 0xffff, v95
	v_add_f32_e32 v76, v109, v76
	v_add_f32_e32 v109, v120, v174
	;; [unrolled: 1-line block ×3, first 2 shown]
	v_sub_f32_e32 v81, v185, v106
	v_sub_f32_e32 v31, v198, v79
	v_add_f32_e32 v112, v141, v188
	v_sub_f32_e32 v104, v210, v133
	v_sub_f32_e32 v122, v222, v164
	v_add_f32_e32 v8, v10, v5
	v_add_f32_e32 v7, v9, v4
	;; [unrolled: 1-line block ×4, first 2 shown]
	v_add_lshl_u32 v4, v46, v13, 3
	v_add_f32_e32 v76, v109, v76
	v_add_f32_e32 v75, v81, v80
	;; [unrolled: 1-line block ×6, first 2 shown]
	ds_write2_b64 v4, v[9:10], v[7:8] offset1:1
	ds_write2_b64 v4, v[5:6], v[75:76] offset0:2 offset1:3
	ds_write2_b64 v4, v[73:74], v[107:108] offset0:4 offset1:5
	;; [unrolled: 1-line block ×7, first 2 shown]
	ds_write_b64 v4, v[2:3] offset:128
.LBB0_7:
	s_or_b32 exec_lo, exec_lo, s0
	v_add_lshl_u32 v96, v46, v93, 3
	s_waitcnt lgkmcnt(0)
	s_barrier
	buffer_gl0_inv
	s_load_dwordx2 s[8:9], s[4:5], 0x8
	v_add_nc_u32_e32 v4, 0x800, v96
	v_add_nc_u32_e32 v5, 0x1000, v96
	v_cmp_gt_u16_e64 s0, 51, v93
	ds_read2_b64 v[12:15], v96 offset1:68
	ds_read2_b64 v[28:31], v96 offset0:187 offset1:255
	ds_read2_b64 v[20:23], v4 offset0:118 offset1:186
	;; [unrolled: 1-line block ×3, first 2 shown]
	s_and_saveexec_b32 s1, s0
	s_cbranch_execz .LBB0_9
; %bb.8:
	v_add_nc_u32_e32 v4, 0x400, v96
	v_add_nc_u32_e32 v5, 0xe00, v96
	ds_read2_b64 v[40:43], v4 offset0:8 offset1:195
	ds_read2_b64 v[36:39], v5 offset0:62 offset1:249
.LBB0_9:
	s_or_b32 exec_lo, exec_lo, s1
	v_and_b32_e32 v4, 0xff, v93
	v_add_nc_u16 v6, v93, 0x44
	v_add_nc_u16 v7, v93, 0x88
	v_mul_lo_u16 v4, 0xf1, v4
	v_and_b32_e32 v8, 0xff, v7
	v_lshrrev_b16 v34, 12, v4
	v_and_b32_e32 v4, 0xff, v6
	v_mul_lo_u16 v8, 0xf1, v8
	v_mul_lo_u16 v5, v34, 17
	;; [unrolled: 1-line block ×3, first 2 shown]
	v_lshrrev_b16 v98, 12, v8
	v_sub_nc_u16 v5, v93, v5
	v_lshrrev_b16 v35, 12, v4
	v_mul_lo_u16 v9, v98, 17
	v_and_b32_e32 v44, 0xff, v5
	v_mul_lo_u16 v8, v35, 17
	v_sub_nc_u16 v7, v7, v9
	s_waitcnt lgkmcnt(0)
	v_mad_u64_u32 v[4:5], null, v44, 24, s[8:9]
	v_sub_nc_u16 v6, v6, v8
	v_and_b32_e32 v99, 0xff, v7
	s_clause 0x1
	global_load_dwordx4 v[24:27], v[4:5], off
	global_load_dwordx2 v[71:72], v[4:5], off offset:16
	v_and_b32_e32 v45, 0xff, v6
	v_mad_u64_u32 v[32:33], null, v99, 24, s[8:9]
	v_mad_u64_u32 v[4:5], null, v45, 24, s[8:9]
	s_clause 0x3
	global_load_dwordx4 v[8:11], v[4:5], off
	global_load_dwordx2 v[69:70], v[4:5], off offset:16
	global_load_dwordx4 v[4:7], v[32:33], off
	global_load_dwordx2 v[67:68], v[32:33], off offset:16
	v_mov_b32_e32 v32, 0x44
	s_load_dwordx4 s[4:7], s[2:3], 0x0
	s_waitcnt vmcnt(0) lgkmcnt(0)
	s_barrier
	buffer_gl0_inv
	v_mul_u32_u24_sdwa v33, v34, v32 dst_sel:DWORD dst_unused:UNUSED_PAD src0_sel:WORD_0 src1_sel:DWORD
	v_mul_u32_u24_sdwa v34, v35, v32 dst_sel:DWORD dst_unused:UNUSED_PAD src0_sel:WORD_0 src1_sel:DWORD
	v_add_nc_u32_e32 v33, v33, v44
	v_add_nc_u32_e32 v34, v34, v45
	v_add_lshl_u32 v101, v46, v33, 3
	v_add_lshl_u32 v100, v46, v34, 3
	v_mul_f32_e32 v33, v29, v25
	v_mul_f32_e32 v34, v28, v25
	;; [unrolled: 1-line block ×6, first 2 shown]
	v_fma_f32 v28, v28, v24, -v33
	v_fmac_f32_e32 v34, v29, v24
	v_fma_f32 v20, v20, v26, -v35
	v_fmac_f32_e32 v44, v21, v26
	;; [unrolled: 2-line block ×3, first 2 shown]
	v_mul_f32_e32 v17, v31, v9
	v_mul_f32_e32 v33, v30, v9
	;; [unrolled: 1-line block ×11, first 2 shown]
	v_fma_f32 v30, v30, v8, -v17
	v_fmac_f32_e32 v33, v31, v8
	v_fma_f32 v22, v22, v10, -v29
	v_fmac_f32_e32 v35, v23, v10
	v_fma_f32 v18, v18, v69, -v45
	v_fmac_f32_e32 v48, v19, v69
	v_sub_f32_e32 v29, v12, v20
	v_sub_f32_e32 v31, v13, v44
	;; [unrolled: 1-line block ×4, first 2 shown]
	v_mul_f32_e32 v16, v42, v5
	v_fma_f32 v17, v42, v4, -v49
	v_fma_f32 v19, v36, v6, -v50
	v_fmac_f32_e32 v51, v37, v6
	v_fma_f32 v23, v38, v67, -v52
	v_fmac_f32_e32 v53, v39, v67
	v_fma_f32 v36, v12, 2.0, -v29
	v_fma_f32 v37, v13, 2.0, -v31
	;; [unrolled: 1-line block ×4, first 2 shown]
	v_sub_f32_e32 v20, v29, v20
	v_add_f32_e32 v21, v31, v21
	v_sub_f32_e32 v38, v14, v22
	v_sub_f32_e32 v35, v15, v35
	;; [unrolled: 1-line block ×4, first 2 shown]
	v_fmac_f32_e32 v16, v43, v4
	v_sub_f32_e32 v18, v17, v23
	v_sub_f32_e32 v22, v36, v28
	;; [unrolled: 1-line block ×3, first 2 shown]
	v_fma_f32 v28, v29, 2.0, -v20
	v_fma_f32 v29, v31, 2.0, -v21
	;; [unrolled: 1-line block ×6, first 2 shown]
	v_sub_f32_e32 v12, v40, v19
	v_sub_f32_e32 v13, v41, v51
	;; [unrolled: 1-line block ×4, first 2 shown]
	v_add_f32_e32 v15, v35, v39
	v_sub_f32_e32 v33, v43, v31
	v_sub_f32_e32 v34, v44, v34
	v_fma_f32 v30, v36, 2.0, -v22
	v_fma_f32 v31, v37, 2.0, -v23
	v_sub_f32_e32 v36, v12, v19
	v_add_f32_e32 v37, v13, v18
	v_fma_f32 v38, v38, 2.0, -v14
	v_fma_f32 v39, v35, 2.0, -v15
	;; [unrolled: 1-line block ×4, first 2 shown]
	ds_write2_b64 v101, v[22:23], v[20:21] offset0:34 offset1:51
	ds_write2_b64 v101, v[30:31], v[28:29] offset1:17
	ds_write2_b64 v100, v[42:43], v[38:39] offset1:17
	ds_write2_b64 v100, v[33:34], v[14:15] offset0:34 offset1:51
	s_and_saveexec_b32 s1, s0
	s_cbranch_execz .LBB0_11
; %bb.10:
	v_fma_f32 v20, v41, 2.0, -v13
	v_fma_f32 v14, v16, 2.0, -v19
	;; [unrolled: 1-line block ×4, first 2 shown]
	v_mul_u32_u24_sdwa v18, v98, v32 dst_sel:DWORD dst_unused:UNUSED_PAD src0_sel:WORD_0 src1_sel:DWORD
	v_fma_f32 v13, v13, 2.0, -v37
	v_sub_f32_e32 v15, v20, v14
	v_fma_f32 v12, v12, 2.0, -v36
	v_sub_f32_e32 v14, v16, v17
	v_add_nc_u32_e32 v18, v18, v99
	v_fma_f32 v17, v20, 2.0, -v15
	v_fma_f32 v16, v16, 2.0, -v14
	v_add_lshl_u32 v18, v46, v18, 3
	ds_write2_b64 v18, v[16:17], v[12:13] offset1:17
	ds_write2_b64 v18, v[14:15], v[36:37] offset0:34 offset1:51
.LBB0_11:
	s_or_b32 exec_lo, exec_lo, s1
	v_mad_u64_u32 v[20:21], null, 0x50, v93, s[8:9]
	s_waitcnt lgkmcnt(0)
	s_barrier
	buffer_gl0_inv
	v_add_nc_u32_e32 v50, 0x800, v96
	v_add_nc_u32_e32 v54, 0x1000, v96
	v_lshl_add_u32 v97, v93, 3, v94
	s_clause 0x4
	global_load_dwordx4 v[32:35], v[20:21], off offset:408
	global_load_dwordx4 v[28:31], v[20:21], off offset:424
	;; [unrolled: 1-line block ×5, first 2 shown]
	ds_read2_b64 v[38:41], v96 offset1:68
	ds_read2_b64 v[42:45], v96 offset0:136 offset1:204
	ds_read2_b64 v[46:49], v50 offset0:16 offset1:84
	;; [unrolled: 1-line block ×4, first 2 shown]
	ds_read_b64 v[58:59], v96 offset:5440
	v_add_nc_u32_e32 v75, 0x400, v97
	v_add_nc_u32_e32 v76, 0x800, v97
	;; [unrolled: 1-line block ×4, first 2 shown]
	s_waitcnt vmcnt(4) lgkmcnt(5)
	v_mul_f32_e32 v73, v41, v33
	v_mul_f32_e32 v74, v40, v33
	s_waitcnt lgkmcnt(4)
	v_mul_f32_e32 v79, v43, v35
	v_mul_f32_e32 v80, v42, v35
	s_waitcnt vmcnt(3)
	v_mul_f32_e32 v81, v45, v29
	s_waitcnt vmcnt(2) lgkmcnt(3)
	v_mul_f32_e32 v85, v49, v17
	v_mul_f32_e32 v86, v48, v17
	s_waitcnt lgkmcnt(2)
	v_mul_f32_e32 v88, v50, v19
	s_waitcnt vmcnt(1)
	v_mul_f32_e32 v90, v52, v13
	s_waitcnt vmcnt(0) lgkmcnt(1)
	v_mul_f32_e32 v104, v57, v21
	s_waitcnt lgkmcnt(0)
	v_mul_f32_e32 v106, v59, v23
	v_mul_f32_e32 v107, v58, v23
	v_fma_f32 v40, v40, v32, -v73
	v_fmac_f32_e32 v74, v41, v32
	v_mul_f32_e32 v82, v44, v29
	v_mul_f32_e32 v83, v47, v31
	;; [unrolled: 1-line block ×8, first 2 shown]
	v_fma_f32 v41, v42, v34, -v79
	v_fmac_f32_e32 v80, v43, v34
	v_fma_f32 v42, v44, v28, -v81
	v_fma_f32 v44, v48, v16, -v85
	v_fmac_f32_e32 v86, v49, v16
	v_fmac_f32_e32 v88, v51, v18
	v_fmac_f32_e32 v90, v53, v12
	v_fma_f32 v51, v56, v20, -v104
	v_fma_f32 v53, v58, v22, -v106
	v_fmac_f32_e32 v107, v59, v22
	v_add_f32_e32 v48, v38, v40
	v_add_f32_e32 v49, v39, v74
	v_fmac_f32_e32 v82, v45, v28
	v_fma_f32 v43, v46, v30, -v83
	v_fmac_f32_e32 v84, v47, v30
	v_fma_f32 v45, v50, v18, -v87
	v_fma_f32 v46, v52, v12, -v89
	;; [unrolled: 1-line block ×3, first 2 shown]
	v_fmac_f32_e32 v103, v55, v14
	v_fmac_f32_e32 v105, v57, v20
	v_add_f32_e32 v50, v40, v53
	v_sub_f32_e32 v40, v40, v53
	v_sub_f32_e32 v54, v74, v107
	v_add_f32_e32 v55, v41, v51
	v_sub_f32_e32 v57, v41, v51
	v_add_f32_e32 v41, v48, v41
	v_add_f32_e32 v48, v49, v80
	;; [unrolled: 1-line block ×4, first 2 shown]
	v_sub_f32_e32 v58, v80, v105
	v_add_f32_e32 v59, v42, v47
	v_sub_f32_e32 v74, v42, v47
	v_sub_f32_e32 v79, v82, v103
	;; [unrolled: 1-line block ×6, first 2 shown]
	v_mul_f32_e32 v49, 0xbf0a6770, v54
	v_mul_f32_e32 v80, 0xbf0a6770, v40
	;; [unrolled: 1-line block ×10, first 2 shown]
	v_add_f32_e32 v41, v41, v42
	v_add_f32_e32 v42, v48, v82
	;; [unrolled: 1-line block ×7, first 2 shown]
	v_mul_f32_e32 v114, 0xbf68dda4, v58
	v_mul_f32_e32 v115, 0xbf68dda4, v57
	;; [unrolled: 1-line block ×40, first 2 shown]
	v_fma_f32 v48, 0x3f575c64, v50, -v49
	v_fmamk_f32 v82, v52, 0x3f575c64, v80
	v_fmac_f32_e32 v49, 0x3f575c64, v50
	v_fma_f32 v80, 0x3f575c64, v52, -v80
	v_fma_f32 v146, 0x3ed4b147, v50, -v108
	v_fmamk_f32 v147, v52, 0x3ed4b147, v109
	v_fmac_f32_e32 v108, 0x3ed4b147, v50
	v_fma_f32 v109, 0x3ed4b147, v52, -v109
	;; [unrolled: 4-line block ×5, first 2 shown]
	v_add_f32_e32 v41, v41, v43
	v_add_f32_e32 v42, v42, v84
	v_fma_f32 v50, 0x3ed4b147, v55, -v114
	v_fmamk_f32 v52, v56, 0x3ed4b147, v115
	v_fmac_f32_e32 v114, 0x3ed4b147, v55
	v_fma_f32 v115, 0x3ed4b147, v56, -v115
	v_fma_f32 v154, 0xbf27a4f4, v55, -v116
	v_fmamk_f32 v155, v56, 0xbf27a4f4, v117
	v_fmac_f32_e32 v116, 0xbf27a4f4, v55
	v_fma_f32 v117, 0xbf27a4f4, v56, -v117
	;; [unrolled: 4-line block ×20, first 2 shown]
	v_add_f32_e32 v43, v38, v48
	v_add_f32_e32 v48, v39, v82
	;; [unrolled: 1-line block ×112, first 2 shown]
	ds_write_b64 v97, v[73:74]
	ds_write2_b64 v97, v[56:57], v[58:59] offset0:68 offset1:136
	ds_write2_b64 v75, v[48:49], v[50:51] offset0:76 offset1:144
	;; [unrolled: 1-line block ×5, first 2 shown]
	s_waitcnt lgkmcnt(0)
	s_barrier
	buffer_gl0_inv
	s_and_saveexec_b32 s8, vcc_lo
	s_cbranch_execz .LBB0_13
; %bb.12:
	s_add_u32 s2, s12, 0x1760
	s_addc_u32 s3, s13, 0
	v_add_co_u32 v81, s1, s2, v92
	global_load_dwordx2 v[38:39], v92, s[2:3]
	v_add_co_ci_u32_e64 v82, null, s3, 0, s1
	v_add_co_u32 v79, s1, 0x800, v81
	s_clause 0x2
	global_load_dwordx2 v[122:123], v92, s[2:3] offset:352
	global_load_dwordx2 v[124:125], v92, s[2:3] offset:704
	global_load_dwordx2 v[126:127], v92, s[2:3] offset:1056
	v_add_co_ci_u32_e64 v80, s1, 0, v82, s1
	v_add_co_u32 v81, s1, 0x1000, v81
	v_add_co_ci_u32_e64 v82, s1, 0, v82, s1
	s_clause 0x9
	global_load_dwordx2 v[128:129], v92, s[2:3] offset:1408
	global_load_dwordx2 v[130:131], v92, s[2:3] offset:1760
	global_load_dwordx2 v[132:133], v[79:80], off offset:64
	global_load_dwordx2 v[134:135], v[79:80], off offset:416
	;; [unrolled: 1-line block ×8, first 2 shown]
	v_or_b32_e32 v79, 0x1600, v92
	s_clause 0x2
	global_load_dwordx2 v[148:149], v[81:82], off offset:832
	global_load_dwordx2 v[150:151], v[81:82], off offset:1184
	global_load_dwordx2 v[152:153], v79, s[2:3]
	ds_read_b64 v[79:80], v97
	s_waitcnt vmcnt(16) lgkmcnt(0)
	v_mul_f32_e32 v81, v80, v39
	v_mul_f32_e32 v82, v79, v39
	v_fma_f32 v81, v79, v38, -v81
	v_fmac_f32_e32 v82, v80, v38
	ds_write_b64 v97, v[81:82]
	ds_read2_b64 v[79:82], v97 offset0:44 offset1:88
	ds_read2_b64 v[83:86], v97 offset0:132 offset1:176
	;; [unrolled: 1-line block ×8, first 2 shown]
	s_waitcnt vmcnt(15) lgkmcnt(7)
	v_mul_f32_e32 v38, v80, v123
	v_mul_f32_e32 v39, v79, v123
	s_waitcnt vmcnt(14)
	v_mul_f32_e32 v154, v82, v125
	v_mul_f32_e32 v123, v81, v125
	s_waitcnt vmcnt(13) lgkmcnt(6)
	v_mul_f32_e32 v155, v84, v127
	v_mul_f32_e32 v125, v83, v127
	s_waitcnt vmcnt(12)
	v_mul_f32_e32 v156, v86, v129
	v_mul_f32_e32 v127, v85, v129
	;; [unrolled: 6-line block ×8, first 2 shown]
	v_fma_f32 v38, v79, v122, -v38
	v_fmac_f32_e32 v39, v80, v122
	v_fma_f32 v122, v81, v124, -v154
	v_fmac_f32_e32 v123, v82, v124
	;; [unrolled: 2-line block ×16, first 2 shown]
	ds_write2_b64 v97, v[38:39], v[122:123] offset0:44 offset1:88
	ds_write2_b64 v97, v[124:125], v[126:127] offset0:132 offset1:176
	;; [unrolled: 1-line block ×8, first 2 shown]
.LBB0_13:
	s_or_b32 exec_lo, exec_lo, s8
	s_waitcnt lgkmcnt(0)
	s_barrier
	buffer_gl0_inv
	s_and_saveexec_b32 s1, vcc_lo
	s_cbranch_execz .LBB0_15
; %bb.14:
	v_add_nc_u32_e32 v0, 0xc00, v97
	v_add_nc_u32_e32 v1, 0x1000, v97
	;; [unrolled: 1-line block ×4, first 2 shown]
	ds_read2_b64 v[36:39], v0 offset0:100 offset1:144
	ds_read2_b64 v[75:78], v1 offset0:60 offset1:104
	;; [unrolled: 1-line block ×3, first 2 shown]
	ds_read_b64 v[73:74], v97
	ds_read2_b64 v[56:59], v97 offset0:44 offset1:88
	ds_read2_b64 v[48:51], v97 offset0:132 offset1:176
	;; [unrolled: 1-line block ×5, first 2 shown]
	s_waitcnt lgkmcnt(8)
	v_mov_b32_e32 v65, v38
	v_mov_b32_e32 v66, v39
	s_waitcnt lgkmcnt(7)
	v_mov_b32_e32 v63, v75
	v_mov_b32_e32 v64, v76
	;; [unrolled: 1-line block ×4, first 2 shown]
.LBB0_15:
	s_or_b32 exec_lo, exec_lo, s1
	s_waitcnt lgkmcnt(4)
	v_add_f32_e32 v121, v3, v57
	v_sub_f32_e32 v118, v57, v3
	v_sub_f32_e32 v103, v56, v2
	v_add_f32_e32 v123, v1, v59
	v_add_f32_e32 v102, v2, v56
	v_mul_f32_e32 v39, 0xbf1a4643, v121
	v_mul_f32_e32 v38, 0xbf4c4adb, v118
	;; [unrolled: 1-line block ×3, first 2 shown]
	v_sub_f32_e32 v119, v59, v1
	v_sub_f32_e32 v105, v58, v0
	v_fmamk_f32 v78, v103, 0xbf4c4adb, v39
	v_mul_f32_e32 v85, 0xbe8c1d8e, v123
	v_mul_f32_e32 v84, 0xbf06c442, v118
	v_mul_f32_e32 v75, 0xbe3c28d5, v118
	v_mul_f32_e32 v76, 0xbf7ba420, v121
	v_fma_f32 v77, 0xbf1a4643, v102, -v38
	v_fmamk_f32 v80, v103, 0xbf06c442, v87
	v_add_f32_e32 v78, v74, v78
	v_add_f32_e32 v104, v0, v58
	v_mul_f32_e32 v83, 0x3f763a35, v119
	v_fmamk_f32 v89, v105, 0x3f763a35, v85
	v_mul_f32_e32 v134, 0x3ee437d1, v123
	v_fma_f32 v79, 0xbf59a7d5, v102, -v84
	v_fmamk_f32 v81, v102, 0xbf7ba420, v75
	v_add_f32_e32 v77, v73, v77
	v_fmamk_f32 v82, v103, 0x3e3c28d5, v76
	v_add_f32_e32 v80, v74, v80
	v_fma_f32 v75, 0xbf7ba420, v102, -v75
	v_fmac_f32_e32 v76, 0xbe3c28d5, v103
	v_fma_f32 v86, 0xbe8c1d8e, v104, -v83
	v_mul_f32_e32 v88, 0x3f65296c, v119
	v_mul_f32_e32 v90, 0x3eb8f4ab, v119
	v_add_f32_e32 v78, v89, v78
	v_fmamk_f32 v89, v105, 0x3f65296c, v134
	v_mul_f32_e32 v107, 0x3f6eb680, v123
	v_add_f32_e32 v79, v73, v79
	v_add_f32_e32 v81, v73, v81
	;; [unrolled: 1-line block ×5, first 2 shown]
	v_fma_f32 v86, 0x3ee437d1, v104, -v88
	v_fmamk_f32 v106, v104, 0x3f6eb680, v90
	s_waitcnt lgkmcnt(3)
	v_sub_f32_e32 v120, v49, v62
	v_add_f32_e32 v80, v89, v80
	v_fmamk_f32 v89, v105, 0xbeb8f4ab, v107
	v_fma_f32 v90, 0x3f6eb680, v104, -v90
	v_fmac_f32_e32 v107, 0x3eb8f4ab, v105
	v_add_f32_e32 v125, v62, v49
	v_add_f32_e32 v82, v74, v82
	;; [unrolled: 1-line block ×5, first 2 shown]
	v_mul_f32_e32 v86, 0xbeb8f4ab, v120
	v_add_f32_e32 v75, v90, v75
	v_add_f32_e32 v76, v107, v76
	v_sub_f32_e32 v107, v48, v61
	v_mul_f32_e32 v90, 0x3f6eb680, v125
	v_add_f32_e32 v82, v89, v82
	v_fma_f32 v89, 0x3f6eb680, v106, -v86
	v_mul_f32_e32 v137, 0xbf7ee86f, v120
	v_mul_f32_e32 v139, 0x3dbcf732, v125
	v_fmamk_f32 v108, v107, 0xbeb8f4ab, v90
	v_mul_f32_e32 v110, 0xbf59a7d5, v125
	v_add_f32_e32 v77, v89, v77
	v_mul_f32_e32 v89, 0xbf06c442, v120
	v_fma_f32 v109, 0x3dbcf732, v106, -v137
	v_fmamk_f32 v111, v107, 0xbf7ee86f, v139
	v_add_f32_e32 v78, v108, v78
	v_fmamk_f32 v108, v107, 0x3f06c442, v110
	v_sub_f32_e32 v122, v51, v64
	v_add_f32_e32 v127, v64, v51
	v_fmamk_f32 v112, v106, 0xbf59a7d5, v89
	v_add_f32_e32 v79, v109, v79
	v_add_f32_e32 v80, v111, v80
	v_add_f32_e32 v82, v108, v82
	v_fma_f32 v111, 0xbf59a7d5, v106, -v89
	v_add_f32_e32 v108, v63, v50
	v_mul_f32_e32 v89, 0xbf06c442, v122
	v_fmac_f32_e32 v110, 0xbf06c442, v107
	v_sub_f32_e32 v109, v50, v63
	v_mul_f32_e32 v135, 0xbf59a7d5, v127
	v_add_f32_e32 v75, v111, v75
	v_fma_f32 v111, 0xbf59a7d5, v108, -v89
	v_add_f32_e32 v76, v110, v76
	v_mul_f32_e32 v138, 0x3f4c4adb, v122
	v_fmamk_f32 v110, v109, 0xbf06c442, v135
	v_mul_f32_e32 v142, 0xbf1a4643, v127
	v_add_f32_e32 v81, v112, v81
	v_add_f32_e32 v77, v111, v77
	v_mul_f32_e32 v111, 0x3f2c7751, v122
	v_fma_f32 v112, 0xbf1a4643, v108, -v138
	v_add_f32_e32 v78, v110, v78
	v_fmamk_f32 v110, v109, 0x3f4c4adb, v142
	v_mul_f32_e32 v113, 0x3f3d2fb0, v127
	s_waitcnt lgkmcnt(2)
	v_sub_f32_e32 v124, v53, v66
	v_fmamk_f32 v114, v108, 0x3f3d2fb0, v111
	v_add_f32_e32 v79, v112, v79
	v_add_f32_e32 v80, v110, v80
	v_fmamk_f32 v112, v109, 0xbf2c7751, v113
	v_add_f32_e32 v110, v65, v52
	v_mul_f32_e32 v136, 0x3f7ee86f, v124
	v_fma_f32 v111, 0x3f3d2fb0, v108, -v111
	v_add_f32_e32 v131, v66, v53
	v_add_f32_e32 v82, v112, v82
	v_fmac_f32_e32 v113, 0x3f2c7751, v109
	v_fma_f32 v112, 0x3dbcf732, v110, -v136
	v_add_f32_e32 v75, v111, v75
	v_sub_f32_e32 v111, v52, v65
	v_mul_f32_e32 v140, 0x3dbcf732, v131
	v_add_f32_e32 v76, v113, v76
	v_add_f32_e32 v77, v112, v77
	v_mul_f32_e32 v143, 0xbeb8f4ab, v124
	v_mul_f32_e32 v113, 0xbf4c4adb, v124
	v_fmamk_f32 v112, v111, 0x3f7ee86f, v140
	v_add_f32_e32 v81, v114, v81
	v_mul_f32_e32 v146, 0x3f6eb680, v131
	v_mul_f32_e32 v114, 0xbf1a4643, v131
	v_fma_f32 v115, 0x3f6eb680, v110, -v143
	v_add_f32_e32 v78, v112, v78
	v_fmamk_f32 v112, v110, 0xbf1a4643, v113
	v_sub_f32_e32 v126, v55, v37
	v_add_f32_e32 v129, v37, v55
	v_fmamk_f32 v116, v111, 0xbeb8f4ab, v146
	v_fmamk_f32 v117, v111, 0x3f4c4adb, v114
	v_add_f32_e32 v79, v115, v79
	v_add_f32_e32 v81, v112, v81
	;; [unrolled: 1-line block ×3, first 2 shown]
	v_mul_f32_e32 v141, 0xbf2c7751, v126
	v_fma_f32 v115, 0xbf1a4643, v110, -v113
	v_fmac_f32_e32 v114, 0xbf4c4adb, v111
	v_sub_f32_e32 v113, v54, v36
	v_mul_f32_e32 v144, 0x3f3d2fb0, v129
	v_add_f32_e32 v80, v116, v80
	v_fma_f32 v116, 0x3f3d2fb0, v112, -v141
	v_add_f32_e32 v76, v114, v76
	v_mul_f32_e32 v148, 0xbe3c28d5, v126
	v_fmamk_f32 v114, v113, 0xbf2c7751, v144
	v_mul_f32_e32 v152, 0xbf7ba420, v129
	v_add_f32_e32 v82, v117, v82
	v_add_f32_e32 v75, v115, v75
	;; [unrolled: 1-line block ×3, first 2 shown]
	v_mul_f32_e32 v115, 0x3f65296c, v126
	v_fma_f32 v116, 0xbf7ba420, v112, -v148
	v_add_f32_e32 v78, v114, v78
	v_mul_f32_e32 v117, 0x3ee437d1, v129
	v_fmamk_f32 v114, v113, 0xbe3c28d5, v152
	s_waitcnt lgkmcnt(0)
	v_sub_f32_e32 v128, v45, v43
	v_fmamk_f32 v130, v112, 0x3ee437d1, v115
	v_add_f32_e32 v79, v116, v79
	v_fmamk_f32 v116, v113, 0xbf65296c, v117
	v_add_f32_e32 v80, v114, v80
	v_add_f32_e32 v114, v42, v44
	v_mul_f32_e32 v145, 0xbe3c28d5, v128
	v_add_f32_e32 v132, v43, v45
	v_add_f32_e32 v81, v130, v81
	;; [unrolled: 1-line block ×3, first 2 shown]
	v_fma_f32 v116, 0x3ee437d1, v112, -v115
	v_fmac_f32_e32 v117, 0x3f65296c, v113
	v_fma_f32 v130, 0xbf7ba420, v114, -v145
	v_sub_f32_e32 v115, v44, v42
	v_mul_f32_e32 v147, 0xbf7ba420, v132
	v_mul_f32_e32 v151, 0x3f2c7751, v128
	v_add_f32_e32 v75, v116, v75
	v_add_f32_e32 v76, v117, v76
	;; [unrolled: 1-line block ×3, first 2 shown]
	v_fmamk_f32 v116, v115, 0xbe3c28d5, v147
	v_mul_f32_e32 v153, 0x3f3d2fb0, v132
	v_mul_f32_e32 v117, 0xbf763a35, v128
	;; [unrolled: 1-line block ×3, first 2 shown]
	v_fma_f32 v130, 0x3f3d2fb0, v114, -v151
	v_add_f32_e32 v78, v116, v78
	v_fmamk_f32 v116, v115, 0x3f2c7751, v153
	v_fmamk_f32 v133, v114, 0xbe8c1d8e, v117
	;; [unrolled: 1-line block ×3, first 2 shown]
	v_add_f32_e32 v79, v130, v79
	v_sub_f32_e32 v130, v47, v41
	v_add_f32_e32 v80, v116, v80
	v_add_f32_e32 v81, v133, v81
	;; [unrolled: 1-line block ×4, first 2 shown]
	v_mul_f32_e32 v149, 0x3f65296c, v130
	v_add_f32_e32 v133, v41, v47
	v_fma_f32 v156, 0xbe8c1d8e, v114, -v117
	v_fmac_f32_e32 v155, 0xbf763a35, v115
	v_sub_f32_e32 v117, v46, v40
	v_fma_f32 v157, 0x3ee437d1, v116, -v149
	v_mul_f32_e32 v150, 0x3ee437d1, v133
	v_mul_f32_e32 v154, 0xbf763a35, v130
	v_add_f32_e32 v156, v156, v75
	v_add_f32_e32 v158, v155, v76
	;; [unrolled: 1-line block ×3, first 2 shown]
	v_fmamk_f32 v75, v117, 0x3f65296c, v150
	v_fma_f32 v76, 0xbe8c1d8e, v116, -v154
	v_mul_f32_e32 v155, 0xbe8c1d8e, v133
	v_mul_f32_e32 v157, 0x3f7ee86f, v130
	;; [unrolled: 1-line block ×3, first 2 shown]
	v_add_f32_e32 v78, v75, v78
	v_add_f32_e32 v79, v76, v79
	v_fmamk_f32 v75, v117, 0xbf763a35, v155
	v_fmamk_f32 v76, v116, 0x3dbcf732, v157
	;; [unrolled: 1-line block ×3, first 2 shown]
	v_fma_f32 v157, 0x3dbcf732, v116, -v157
	v_fmac_f32_e32 v159, 0x3f7ee86f, v117
	v_add_f32_e32 v80, v75, v80
	v_add_f32_e32 v75, v76, v81
	;; [unrolled: 1-line block ×5, first 2 shown]
	s_barrier
	buffer_gl0_inv
	s_and_saveexec_b32 s1, vcc_lo
	s_cbranch_execz .LBB0_17
; %bb.16:
	v_mul_f32_e32 v159, 0xbf06c442, v103
	v_mul_f32_e32 v163, 0x3f65296c, v105
	;; [unrolled: 1-line block ×5, first 2 shown]
	v_sub_f32_e32 v87, v87, v159
	v_sub_f32_e32 v134, v134, v163
	v_mul_f32_e32 v162, 0x3ee437d1, v104
	v_mul_f32_e32 v174, 0xbeb8f4ab, v111
	v_add_f32_e32 v84, v158, v84
	v_add_f32_e32 v87, v74, v87
	v_mul_f32_e32 v157, 0xbf4c4adb, v103
	v_mul_f32_e32 v166, 0x3dbcf732, v106
	;; [unrolled: 1-line block ×3, first 2 shown]
	v_add_f32_e32 v84, v73, v84
	v_add_f32_e32 v87, v134, v87
	v_sub_f32_e32 v134, v139, v167
	v_add_f32_e32 v88, v162, v88
	v_mul_f32_e32 v161, 0x3f763a35, v105
	v_mul_f32_e32 v170, 0xbf1a4643, v108
	v_sub_f32_e32 v39, v39, v157
	v_add_f32_e32 v87, v134, v87
	v_sub_f32_e32 v134, v142, v171
	v_mul_f32_e32 v142, 0x3f2c7751, v115
	v_add_f32_e32 v84, v88, v84
	v_add_f32_e32 v88, v166, v137
	v_mul_f32_e32 v165, 0xbeb8f4ab, v107
	v_add_f32_e32 v87, v134, v87
	v_sub_f32_e32 v134, v146, v174
	v_mul_f32_e32 v173, 0x3f6eb680, v110
	v_mul_f32_e32 v137, 0xbf763a35, v117
	v_add_f32_e32 v84, v88, v84
	v_add_f32_e32 v88, v170, v138
	;; [unrolled: 1-line block ×3, first 2 shown]
	v_sub_f32_e32 v134, v152, v177
	v_add_f32_e32 v39, v74, v39
	v_sub_f32_e32 v85, v85, v161
	v_mul_f32_e32 v156, 0xbf1a4643, v102
	v_mul_f32_e32 v169, 0xbf06c442, v109
	v_add_f32_e32 v87, v134, v87
	v_sub_f32_e32 v134, v153, v142
	v_mul_f32_e32 v176, 0xbf7ba420, v112
	v_add_f32_e32 v84, v88, v84
	v_add_f32_e32 v88, v173, v143
	;; [unrolled: 1-line block ×4, first 2 shown]
	v_sub_f32_e32 v134, v155, v137
	v_sub_f32_e32 v90, v90, v165
	v_mul_f32_e32 v160, 0xbe8c1d8e, v104
	v_mul_f32_e32 v172, 0x3f7ee86f, v111
	;; [unrolled: 1-line block ×3, first 2 shown]
	v_add_f32_e32 v84, v88, v84
	v_add_f32_e32 v88, v176, v148
	;; [unrolled: 1-line block ×5, first 2 shown]
	v_sub_f32_e32 v87, v135, v169
	v_mul_f32_e32 v164, 0x3f6eb680, v106
	v_mul_f32_e32 v175, 0xbf2c7751, v113
	;; [unrolled: 1-line block ×3, first 2 shown]
	v_add_f32_e32 v84, v88, v84
	v_add_f32_e32 v88, v178, v151
	;; [unrolled: 1-line block ×5, first 2 shown]
	v_sub_f32_e32 v87, v140, v172
	v_mul_f32_e32 v168, 0xbf59a7d5, v108
	v_mul_f32_e32 v167, 0xbe3c28d5, v115
	v_add_f32_e32 v84, v88, v84
	v_add_f32_e32 v88, v162, v154
	;; [unrolled: 1-line block ×5, first 2 shown]
	v_sub_f32_e32 v87, v144, v175
	v_mul_f32_e32 v137, 0xbe8c1d8e, v121
	v_mul_f32_e32 v159, 0x3dbcf732, v110
	v_add_f32_e32 v38, v88, v84
	v_add_f32_e32 v83, v86, v83
	;; [unrolled: 1-line block ×4, first 2 shown]
	v_sub_f32_e32 v86, v147, v167
	v_fmamk_f32 v87, v103, 0x3f763a35, v137
	v_mul_f32_e32 v138, 0xbf59a7d5, v123
	v_mul_f32_e32 v163, 0x3f3d2fb0, v112
	;; [unrolled: 1-line block ×3, first 2 shown]
	v_add_f32_e32 v83, v84, v83
	v_add_f32_e32 v84, v159, v136
	;; [unrolled: 1-line block ×4, first 2 shown]
	v_fmamk_f32 v87, v105, 0xbf06c442, v138
	v_mul_f32_e32 v136, 0x3f3d2fb0, v125
	v_mul_f32_e32 v139, 0xbf7ba420, v114
	v_add_f32_e32 v83, v84, v83
	v_add_f32_e32 v84, v163, v141
	v_sub_f32_e32 v88, v150, v146
	v_add_f32_e32 v86, v87, v86
	v_fmamk_f32 v87, v107, 0xbf2c7751, v136
	v_mul_f32_e32 v140, 0x3ee437d1, v127
	v_mul_f32_e32 v158, 0x3ee437d1, v116
	v_add_f32_e32 v83, v84, v83
	v_add_f32_e32 v89, v139, v145
	;; [unrolled: 1-line block ×4, first 2 shown]
	v_fmamk_f32 v86, v109, 0x3f65296c, v140
	v_mul_f32_e32 v139, 0xbf7ba420, v131
	v_add_f32_e32 v83, v89, v83
	v_add_f32_e32 v87, v158, v149
	v_mul_f32_e32 v141, 0xbf763a35, v118
	v_add_f32_e32 v85, v86, v85
	v_fmamk_f32 v86, v111, 0x3e3c28d5, v139
	v_mul_f32_e32 v142, 0x3dbcf732, v129
	v_add_f32_e32 v83, v87, v83
	v_fmamk_f32 v87, v102, 0xbe8c1d8e, v141
	;; [unrolled: 3-line block ×49, first 2 shown]
	v_mul_f32_e32 v196, 0x3f6eb680, v133
	v_add_f32_e32 v89, v135, v134
	v_mul_f32_e32 v121, 0x3f6eb680, v121
	v_mul_f32_e32 v123, 0x3f3d2fb0, v123
	v_add_f32_e32 v135, v191, v184
	v_fmamk_f32 v184, v113, 0xbf763a35, v192
	v_mul_f32_e32 v191, 0x3ee437d1, v132
	v_mul_f32_e32 v125, 0x3ee437d1, v125
	v_fmamk_f32 v200, v105, 0x3f2c7751, v123
	v_add_f32_e32 v57, v57, v74
	v_add_f32_e32 v135, v184, v135
	v_fmamk_f32 v184, v115, 0xbf65296c, v191
	v_mul_f32_e32 v127, 0x3dbcf732, v127
	v_add_f32_e32 v56, v56, v73
	v_add_f32_e32 v57, v59, v57
	v_mul_f32_e32 v131, 0xbe8c1d8e, v131
	v_add_f32_e32 v135, v184, v135
	v_fmamk_f32 v184, v117, 0xbeb8f4ab, v196
	v_add_f32_e32 v56, v58, v56
	v_add_f32_e32 v49, v49, v57
	v_mul_f32_e32 v59, 0xbf1a4643, v129
	v_mul_f32_e32 v190, 0xbf2c7751, v118
	v_add_f32_e32 v135, v184, v135
	v_fmamk_f32 v184, v103, 0x3eb8f4ab, v121
	v_add_f32_e32 v49, v51, v49
	v_add_f32_e32 v48, v48, v56
	v_fmamk_f32 v57, v113, 0x3f4c4adb, v59
	v_mul_f32_e32 v118, 0xbeb8f4ab, v118
	v_add_f32_e32 v184, v74, v184
	v_add_f32_e32 v49, v53, v49
	;; [unrolled: 1-line block ×3, first 2 shown]
	v_mul_f32_e32 v58, 0xbf59a7d5, v132
	v_mul_f32_e32 v50, 0xbf2c7751, v119
	v_add_f32_e32 v184, v200, v184
	v_fmamk_f32 v200, v107, 0x3f65296c, v125
	v_add_f32_e32 v49, v55, v49
	v_add_f32_e32 v48, v52, v48
	v_fmamk_f32 v56, v115, 0x3f06c442, v58
	v_fmamk_f32 v52, v104, 0x3f3d2fb0, v50
	v_add_f32_e32 v184, v200, v184
	v_fmamk_f32 v200, v109, 0x3f7ee86f, v127
	v_mul_f32_e32 v55, 0xbf65296c, v120
	v_add_f32_e32 v45, v45, v49
	v_add_f32_e32 v48, v54, v48
	v_fmac_f32_e32 v137, 0xbf763a35, v103
	v_add_f32_e32 v184, v200, v184
	v_fmamk_f32 v200, v111, 0x3f763a35, v131
	v_add_f32_e32 v45, v47, v45
	v_add_f32_e32 v44, v44, v48
	v_fmac_f32_e32 v138, 0x3f06c442, v105
	v_fmac_f32_e32 v136, 0x3f2c7751, v107
	v_add_f32_e32 v129, v200, v184
	v_add_f32_e32 v45, v41, v45
	;; [unrolled: 1-line block ×3, first 2 shown]
	v_mul_f32_e32 v46, 0xbf763a35, v124
	v_fmac_f32_e32 v140, 0xbf65296c, v109
	v_add_f32_e32 v51, v57, v129
	v_fmamk_f32 v57, v102, 0x3f6eb680, v118
	v_add_f32_e32 v43, v43, v45
	v_add_f32_e32 v40, v40, v44
	v_fmamk_f32 v44, v110, 0xbe8c1d8e, v46
	v_add_f32_e32 v51, v56, v51
	v_add_f32_e32 v53, v73, v57
	v_mul_f32_e32 v56, 0xbf7ba420, v133
	v_mul_f32_e32 v45, 0xbf4c4adb, v126
	v_add_f32_e32 v37, v37, v43
	v_add_f32_e32 v40, v42, v40
	;; [unrolled: 1-line block ×3, first 2 shown]
	v_fmamk_f32 v52, v106, 0x3ee437d1, v55
	v_mul_f32_e32 v53, 0xbf7ee86f, v122
	v_fmamk_f32 v47, v117, 0x3e3c28d5, v56
	v_add_f32_e32 v42, v74, v137
	v_add_f32_e32 v37, v66, v37
	v_add_f32_e32 v48, v52, v49
	v_fmamk_f32 v49, v108, 0x3dbcf732, v53
	v_add_f32_e32 v41, v47, v51
	v_add_f32_e32 v36, v36, v40
	;; [unrolled: 1-line block ×5, first 2 shown]
	v_fmac_f32_e32 v139, 0xbe3c28d5, v111
	v_add_f32_e32 v36, v65, v36
	v_add_f32_e32 v40, v136, v40
	;; [unrolled: 1-line block ×4, first 2 shown]
	v_fmamk_f32 v44, v112, 0xbf1a4643, v45
	v_mul_f32_e32 v47, 0xbe3c28d5, v130
	v_add_f32_e32 v36, v63, v36
	v_add_f32_e32 v40, v140, v40
	;; [unrolled: 1-line block ×4, first 2 shown]
	v_mul_f32_e32 v44, 0xbf06c442, v128
	v_add_f32_e32 v36, v61, v36
	v_add_f32_e32 v37, v139, v40
	v_fmac_f32_e32 v142, 0x3f7ee86f, v113
	v_add_f32_e32 v1, v3, v1
	v_fmamk_f32 v43, v114, 0xbf59a7d5, v44
	v_add_f32_e32 v0, v0, v36
	v_fmac_f32_e32 v144, 0xbeb8f4ab, v115
	v_add_f32_e32 v3, v142, v37
	v_fma_f32 v37, 0xbf59a7d5, v104, -v143
	v_add_f32_e32 v42, v43, v42
	v_fmamk_f32 v43, v116, 0xbf7ba420, v47
	v_fmac_f32_e32 v148, 0xbf7ee86f, v103
	v_add_f32_e32 v0, v2, v0
	v_add_f32_e32 v2, v144, v3
	v_fmac_f32_e32 v146, 0xbf4c4adb, v117
	v_add_f32_e32 v40, v43, v42
	v_fma_f32 v42, 0xbe8c1d8e, v102, -v141
	v_fmac_f32_e32 v150, 0xbe3c28d5, v105
	v_fmac_f32_e32 v152, 0x3f763a35, v107
	v_add_f32_e32 v3, v146, v2
	v_fma_f32 v2, 0x3dbcf732, v102, -v157
	v_add_f32_e32 v36, v73, v42
	v_add_f32_e32 v42, v74, v148
	v_fma_f32 v43, 0xbf7ba420, v104, -v159
	v_fmac_f32_e32 v154, 0x3eb8f4ab, v109
	v_add_f32_e32 v2, v73, v2
	v_add_f32_e32 v36, v37, v36
	v_fma_f32 v37, 0x3f3d2fb0, v106, -v145
	v_add_f32_e32 v42, v150, v42
	v_fmac_f32_e32 v156, 0xbf65296c, v111
	v_add_f32_e32 v2, v43, v2
	v_fma_f32 v43, 0xbe8c1d8e, v106, -v161
	v_add_f32_e32 v36, v37, v36
	v_fma_f32 v37, 0x3ee437d1, v108, -v147
	v_add_f32_e32 v42, v152, v42
	v_fmac_f32_e32 v158, 0xbf06c442, v113
	v_add_f32_e32 v2, v43, v2
	v_fma_f32 v43, 0x3f6eb680, v108, -v163
	v_add_f32_e32 v36, v37, v36
	v_fma_f32 v37, 0xbf7ba420, v110, -v149
	v_add_f32_e32 v42, v154, v42
	v_fmac_f32_e32 v160, 0x3f4c4adb, v115
	v_add_f32_e32 v2, v43, v2
	v_fma_f32 v43, 0x3ee437d1, v110, -v165
	v_add_f32_e32 v36, v37, v36
	v_fma_f32 v37, 0x3dbcf732, v112, -v151
	v_add_f32_e32 v42, v156, v42
	v_fma_f32 v48, 0xbf59a7d5, v112, -v167
	v_add_f32_e32 v43, v43, v2
	v_fmac_f32_e32 v164, 0xbf65296c, v103
	v_add_f32_e32 v36, v37, v36
	v_fma_f32 v37, 0x3f6eb680, v114, -v153
	v_add_f32_e32 v42, v158, v42
	v_fmac_f32_e32 v162, 0x3f2c7751, v117
	v_fmac_f32_e32 v166, 0xbf4c4adb, v105
	v_fmac_f32_e32 v168, 0x3e3c28d5, v107
	v_add_f32_e32 v36, v37, v36
	v_fma_f32 v37, 0xbf1a4643, v116, -v155
	v_fma_f32 v51, 0xbf1a4643, v104, -v175
	v_fmac_f32_e32 v180, 0xbf2c7751, v103
	v_fmac_f32_e32 v170, 0x3f763a35, v109
	v_fmac_f32_e32 v183, 0xbf7ee86f, v105
	v_add_f32_e32 v2, v37, v36
	v_add_f32_e32 v36, v160, v42
	;; [unrolled: 1-line block ×3, first 2 shown]
	v_fma_f32 v43, 0xbf1a4643, v114, -v169
	v_add_f32_e32 v48, v74, v164
	v_fmac_f32_e32 v172, 0x3f2c7751, v111
	v_add_f32_e32 v37, v162, v36
	v_fma_f32 v36, 0x3ee437d1, v102, -v173
	v_add_f32_e32 v42, v43, v42
	v_fma_f32 v43, 0x3f3d2fb0, v116, -v171
	v_add_f32_e32 v48, v166, v48
	v_fmac_f32_e32 v185, 0xbf4c4adb, v107
	v_add_f32_e32 v49, v73, v36
	v_fmac_f32_e32 v174, 0xbeb8f4ab, v113
	v_add_f32_e32 v36, v43, v42
	v_add_f32_e32 v42, v168, v48
	v_fma_f32 v48, 0xbf7ba420, v106, -v177
	v_add_f32_e32 v43, v51, v49
	v_add_f32_e32 v49, v74, v180
	v_fmac_f32_e32 v187, 0xbe3c28d5, v109
	v_add_f32_e32 v42, v170, v42
	v_fmac_f32_e32 v176, 0xbf7ee86f, v115
	v_add_f32_e32 v43, v48, v43
	v_fma_f32 v48, 0xbe8c1d8e, v108, -v179
	v_add_f32_e32 v49, v183, v49
	v_add_f32_e32 v42, v172, v42
	v_fmac_f32_e32 v189, 0x3f06c442, v111
	v_fmac_f32_e32 v178, 0xbf06c442, v117
	v_add_f32_e32 v43, v48, v43
	v_fma_f32 v48, 0x3f3d2fb0, v110, -v182
	v_add_f32_e32 v49, v185, v49
	v_add_f32_e32 v42, v174, v42
	v_fma_f32 v51, 0x3dbcf732, v114, -v186
	v_fmac_f32_e32 v192, 0x3f763a35, v113
	v_add_f32_e32 v43, v48, v43
	v_fma_f32 v48, 0x3f6eb680, v112, -v181
	v_add_f32_e32 v49, v187, v49
	v_add_f32_e32 v42, v176, v42
	v_mul_f32_e32 v193, 0xbf7ee86f, v119
	v_fmac_f32_e32 v191, 0x3f65296c, v115
	v_add_f32_e32 v48, v48, v43
	v_add_f32_e32 v49, v189, v49
	v_add_f32_e32 v43, v178, v42
	v_fma_f32 v42, 0x3f3d2fb0, v102, -v190
	v_fmamk_f32 v134, v102, 0x3f3d2fb0, v190
	v_add_f32_e32 v48, v51, v48
	v_fma_f32 v51, 0xbf59a7d5, v116, -v188
	v_add_f32_e32 v49, v192, v49
	v_mul_f32_e32 v195, 0xbf4c4adb, v120
	v_add_f32_e32 v52, v73, v42
	v_fma_f32 v54, 0x3dbcf732, v104, -v193
	v_add_f32_e32 v42, v51, v48
	v_fmac_f32_e32 v121, 0xbeb8f4ab, v103
	v_add_f32_e32 v48, v191, v49
	v_fma_f32 v49, 0x3f6eb680, v102, -v118
	v_add_f32_e32 v134, v73, v134
	v_fmamk_f32 v194, v104, 0x3dbcf732, v193
	v_mul_f32_e32 v197, 0xbe3c28d5, v122
	v_add_f32_e32 v51, v54, v52
	v_fma_f32 v52, 0xbf1a4643, v106, -v195
	v_add_f32_e32 v54, v74, v121
	v_fmac_f32_e32 v123, 0xbf2c7751, v105
	v_add_f32_e32 v49, v73, v49
	v_fma_f32 v50, 0x3f3d2fb0, v104, -v50
	v_add_f32_e32 v134, v194, v134
	v_fmamk_f32 v194, v106, 0xbf1a4643, v195
	;; [unrolled: 9-line block ×5, first 2 shown]
	v_add_f32_e32 v50, v52, v51
	v_fma_f32 v51, 0x3ee437d1, v114, -v201
	v_add_f32_e32 v52, v131, v53
	v_fmac_f32_e32 v59, 0xbf4c4adb, v113
	v_add_f32_e32 v46, v46, v49
	v_fma_f32 v45, 0xbf1a4643, v112, -v45
	v_add_f32_e32 v134, v194, v134
	v_fmamk_f32 v194, v114, 0x3ee437d1, v201
	v_mul_f32_e32 v202, 0x3eb8f4ab, v130
	v_add_f32_e32 v49, v51, v50
	v_add_f32_e32 v50, v59, v52
	v_fmac_f32_e32 v58, 0xbf06c442, v115
	v_add_f32_e32 v45, v45, v46
	v_fma_f32 v44, 0xbf59a7d5, v114, -v44
	v_and_b32_e32 v51, 0xffff, v95
	v_add_f32_e32 v134, v194, v134
	v_fmamk_f32 v194, v116, 0x3f6eb680, v202
	v_fmac_f32_e32 v196, 0x3eb8f4ab, v117
	v_fma_f32 v46, 0x3f6eb680, v116, -v202
	v_add_f32_e32 v50, v58, v50
	v_fmac_f32_e32 v56, 0xbe3c28d5, v117
	v_add_f32_e32 v52, v44, v45
	v_fma_f32 v53, 0xbf7ba420, v116, -v47
	v_lshl_add_u32 v51, v51, 3, v94
	v_add_f32_e32 v134, v194, v134
	v_add_f32_e32 v45, v196, v48
	;; [unrolled: 1-line block ×5, first 2 shown]
	ds_write2_b64 v51, v[0:1], v[40:41] offset1:1
	ds_write2_b64 v51, v[134:135], v[89:90] offset0:2 offset1:3
	ds_write2_b64 v51, v[87:88], v[85:86] offset0:4 offset1:5
	;; [unrolled: 1-line block ×7, first 2 shown]
	ds_write_b64 v51, v[46:47] offset:128
.LBB0_17:
	s_or_b32 exec_lo, exec_lo, s1
	v_add_nc_u32_e32 v48, 0x800, v96
	v_add_nc_u32_e32 v36, 0x1000, v96
	s_waitcnt lgkmcnt(0)
	s_barrier
	buffer_gl0_inv
	ds_read2_b64 v[0:3], v96 offset1:68
	ds_read2_b64 v[44:47], v96 offset0:187 offset1:255
	ds_read2_b64 v[40:43], v48 offset0:118 offset1:186
	;; [unrolled: 1-line block ×3, first 2 shown]
	s_and_saveexec_b32 s1, s0
	s_cbranch_execz .LBB0_19
; %bb.18:
	ds_read2_b64 v[48:51], v48 offset0:67 offset1:254
	ds_read_b64 v[75:76], v96 offset:1088
	ds_read_b64 v[77:78], v96 offset:5576
	s_waitcnt lgkmcnt(2)
	v_mov_b32_e32 v79, v50
	v_mov_b32_e32 v80, v51
	;; [unrolled: 1-line block ×4, first 2 shown]
.LBB0_19:
	s_or_b32 exec_lo, exec_lo, s1
	s_waitcnt lgkmcnt(2)
	v_mul_f32_e32 v48, v25, v45
	v_mul_f32_e32 v25, v25, v44
	s_waitcnt lgkmcnt(1)
	v_mul_f32_e32 v49, v27, v41
	v_mul_f32_e32 v27, v27, v40
	s_waitcnt lgkmcnt(0)
	v_fmac_f32_e32 v48, v24, v44
	v_fma_f32 v24, v24, v45, -v25
	v_fmac_f32_e32 v49, v26, v40
	v_mul_f32_e32 v25, v72, v37
	v_fma_f32 v26, v26, v41, -v27
	v_mul_f32_e32 v27, v72, v36
	v_mul_f32_e32 v40, v9, v47
	;; [unrolled: 1-line block ×3, first 2 shown]
	v_fmac_f32_e32 v25, v71, v36
	v_mul_f32_e32 v36, v11, v43
	v_fma_f32 v27, v71, v37, -v27
	v_fmac_f32_e32 v40, v8, v46
	v_fma_f32 v9, v8, v47, -v9
	v_mul_f32_e32 v8, v11, v42
	v_fmac_f32_e32 v36, v10, v42
	v_sub_f32_e32 v41, v1, v26
	v_sub_f32_e32 v26, v24, v27
	v_mul_f32_e32 v27, v70, v39
	v_mul_f32_e32 v42, v70, v38
	v_sub_f32_e32 v37, v0, v49
	v_sub_f32_e32 v25, v48, v25
	v_fma_f32 v44, v1, 2.0, -v41
	v_fma_f32 v1, v24, 2.0, -v26
	v_fma_f32 v10, v10, v43, -v8
	v_fmac_f32_e32 v27, v69, v38
	v_fma_f32 v24, v69, v39, -v42
	v_fma_f32 v11, v0, 2.0, -v37
	v_fma_f32 v0, v48, 2.0, -v25
	v_sub_f32_e32 v38, v2, v36
	v_sub_f32_e32 v39, v3, v10
	;; [unrolled: 1-line block ×5, first 2 shown]
	v_add_f32_e32 v10, v37, v26
	v_fma_f32 v42, v2, 2.0, -v38
	v_fma_f32 v43, v3, 2.0, -v39
	;; [unrolled: 1-line block ×4, first 2 shown]
	v_sub_f32_e32 v1, v44, v1
	v_fma_f32 v8, v11, 2.0, -v0
	v_sub_f32_e32 v11, v41, v25
	v_sub_f32_e32 v24, v42, v3
	;; [unrolled: 1-line block ×3, first 2 shown]
	v_add_f32_e32 v26, v38, v36
	v_sub_f32_e32 v27, v39, v27
	v_fma_f32 v9, v44, 2.0, -v1
	v_fma_f32 v2, v37, 2.0, -v10
	;; [unrolled: 1-line block ×7, first 2 shown]
	s_barrier
	buffer_gl0_inv
	ds_write2_b64 v101, v[8:9], v[2:3] offset1:17
	ds_write2_b64 v101, v[0:1], v[10:11] offset0:34 offset1:51
	ds_write2_b64 v100, v[36:37], v[38:39] offset1:17
	ds_write2_b64 v100, v[24:25], v[26:27] offset0:34 offset1:51
	s_and_saveexec_b32 s1, s0
	s_cbranch_execz .LBB0_21
; %bb.20:
	v_mul_f32_e32 v0, v7, v79
	v_mul_f32_e32 v1, v5, v82
	v_mul_f32_e32 v2, v7, v80
	v_mul_f32_e32 v3, v5, v81
	v_mul_f32_e32 v5, v68, v77
	v_mul_f32_e32 v7, v68, v78
	v_fma_f32 v0, v6, v80, -v0
	v_fmac_f32_e32 v1, v4, v81
	v_fma_f32 v3, v4, v82, -v3
	v_fma_f32 v4, v67, v78, -v5
	v_fmac_f32_e32 v2, v6, v79
	v_fmac_f32_e32 v7, v67, v77
	v_sub_f32_e32 v5, v76, v0
	v_mov_b32_e32 v6, 0x44
	v_sub_f32_e32 v0, v3, v4
	v_sub_f32_e32 v4, v75, v2
	;; [unrolled: 1-line block ×3, first 2 shown]
	v_fma_f32 v7, v76, 2.0, -v5
	v_mul_u32_u24_sdwa v6, v98, v6 dst_sel:DWORD dst_unused:UNUSED_PAD src0_sel:WORD_0 src1_sel:DWORD
	v_fma_f32 v3, v3, 2.0, -v0
	v_fma_f32 v8, v75, 2.0, -v4
	;; [unrolled: 1-line block ×3, first 2 shown]
	v_sub_f32_e32 v1, v5, v2
	v_add_f32_e32 v0, v4, v0
	v_sub_f32_e32 v3, v7, v3
	v_sub_f32_e32 v2, v8, v9
	v_add_nc_u32_e32 v9, v6, v99
	v_fma_f32 v5, v5, 2.0, -v1
	v_fma_f32 v4, v4, 2.0, -v0
	;; [unrolled: 1-line block ×4, first 2 shown]
	v_lshl_add_u32 v8, v9, 3, v94
	ds_write2_b64 v8, v[6:7], v[4:5] offset1:17
	ds_write2_b64 v8, v[2:3], v[0:1] offset0:34 offset1:51
.LBB0_21:
	s_or_b32 exec_lo, exec_lo, s1
	s_waitcnt lgkmcnt(0)
	s_barrier
	buffer_gl0_inv
	ds_read2_b64 v[0:3], v96 offset1:68
	ds_read2_b64 v[4:7], v96 offset0:136 offset1:204
	v_add_nc_u32_e32 v24, 0x800, v96
	v_add_nc_u32_e32 v36, 0x1000, v96
	ds_read2_b64 v[8:11], v24 offset0:16 offset1:84
	ds_read2_b64 v[24:27], v24 offset0:152 offset1:220
	ds_read_b64 v[40:41], v96 offset:5440
	ds_read2_b64 v[36:39], v36 offset0:32 offset1:100
	s_waitcnt lgkmcnt(5)
	v_mul_f32_e32 v42, v33, v3
	v_mul_f32_e32 v33, v33, v2
	s_waitcnt lgkmcnt(4)
	v_mul_f32_e32 v44, v29, v7
	v_mul_f32_e32 v43, v35, v5
	;; [unrolled: 1-line block ×4, first 2 shown]
	v_fmac_f32_e32 v42, v32, v2
	v_fma_f32 v2, v32, v3, -v33
	v_fmac_f32_e32 v44, v28, v6
	s_waitcnt lgkmcnt(3)
	v_mul_f32_e32 v6, v31, v9
	v_mul_f32_e32 v3, v31, v8
	v_fmac_f32_e32 v43, v34, v4
	v_fma_f32 v4, v34, v5, -v35
	v_fma_f32 v5, v28, v7, -v29
	v_fmac_f32_e32 v6, v30, v8
	v_fma_f32 v8, v30, v9, -v3
	v_add_f32_e32 v3, v0, v42
	v_add_f32_e32 v9, v1, v2
	v_mul_f32_e32 v7, v17, v11
	v_mul_f32_e32 v17, v17, v10
	s_waitcnt lgkmcnt(2)
	v_mul_f32_e32 v28, v19, v25
	v_add_f32_e32 v3, v3, v43
	v_add_f32_e32 v9, v9, v4
	v_fmac_f32_e32 v7, v16, v10
	v_fma_f32 v10, v16, v11, -v17
	v_mul_f32_e32 v11, v19, v24
	v_add_f32_e32 v3, v3, v44
	v_add_f32_e32 v9, v9, v5
	v_fmac_f32_e32 v28, v18, v24
	v_mul_f32_e32 v16, v13, v27
	v_mul_f32_e32 v13, v13, v26
	v_add_f32_e32 v3, v3, v6
	v_add_f32_e32 v9, v9, v8
	v_fma_f32 v11, v18, v25, -v11
	v_fmac_f32_e32 v16, v12, v26
	v_fma_f32 v12, v12, v27, -v13
	v_add_f32_e32 v3, v3, v7
	v_add_f32_e32 v9, v9, v10
	s_waitcnt lgkmcnt(0)
	v_mul_f32_e32 v13, v15, v37
	v_mul_f32_e32 v15, v15, v36
	;; [unrolled: 1-line block ×3, first 2 shown]
	v_add_f32_e32 v3, v3, v28
	v_add_f32_e32 v9, v9, v11
	v_fmac_f32_e32 v13, v14, v36
	v_fma_f32 v14, v14, v37, -v15
	v_mul_f32_e32 v15, v23, v40
	v_mul_f32_e32 v19, v21, v38
	v_add_f32_e32 v3, v3, v16
	v_add_f32_e32 v9, v9, v12
	v_fmac_f32_e32 v17, v20, v38
	v_mul_f32_e32 v18, v23, v41
	v_fma_f32 v15, v22, v41, -v15
	v_fma_f32 v19, v20, v39, -v19
	v_add_f32_e32 v3, v3, v13
	v_add_f32_e32 v9, v9, v14
	v_fmac_f32_e32 v18, v22, v40
	v_sub_f32_e32 v20, v2, v15
	v_add_f32_e32 v22, v2, v15
	v_add_f32_e32 v2, v3, v17
	v_add_f32_e32 v3, v9, v19
	v_add_f32_e32 v21, v42, v18
	v_mul_f32_e32 v23, 0xbf0a6770, v20
	v_mul_f32_e32 v29, 0xbf7d64f0, v20
	;; [unrolled: 1-line block ×3, first 2 shown]
	v_add_f32_e32 v3, v3, v15
	v_mul_f32_e32 v15, 0xbf68dda4, v20
	v_mul_f32_e32 v20, 0xbe903f40, v20
	v_sub_f32_e32 v39, v4, v19
	v_sub_f32_e32 v9, v42, v18
	v_mul_f32_e32 v24, 0x3f575c64, v22
	v_fmamk_f32 v25, v21, 0x3f575c64, v23
	v_fma_f32 v23, 0x3f575c64, v21, -v23
	v_fmamk_f32 v26, v21, 0x3ed4b147, v15
	v_mul_f32_e32 v27, 0x3ed4b147, v22
	v_fma_f32 v15, 0x3ed4b147, v21, -v15
	v_mul_f32_e32 v31, 0xbe11bafb, v22
	v_fmamk_f32 v32, v21, 0xbe11bafb, v29
	v_fma_f32 v29, 0xbe11bafb, v21, -v29
	v_mul_f32_e32 v35, 0xbf27a4f4, v22
	v_fmamk_f32 v36, v21, 0xbf27a4f4, v34
	v_fma_f32 v34, 0xbf27a4f4, v21, -v34
	v_fmamk_f32 v38, v21, 0xbf75a155, v20
	v_mul_f32_e32 v22, 0xbf75a155, v22
	v_fma_f32 v20, 0xbf75a155, v21, -v20
	v_add_f32_e32 v4, v4, v19
	v_add_f32_e32 v19, v43, v17
	v_mul_f32_e32 v21, 0xbf68dda4, v39
	v_add_f32_e32 v2, v2, v18
	v_fmamk_f32 v18, v9, 0x3f0a6770, v24
	v_add_f32_e32 v25, v0, v25
	v_fmac_f32_e32 v24, 0xbf0a6770, v9
	v_fmamk_f32 v30, v9, 0x3f68dda4, v27
	v_fmac_f32_e32 v27, 0xbf68dda4, v9
	v_fmamk_f32 v33, v9, 0x3f7d64f0, v31
	;; [unrolled: 2-line block ×4, first 2 shown]
	v_fmac_f32_e32 v22, 0xbe903f40, v9
	v_sub_f32_e32 v9, v43, v17
	v_mul_f32_e32 v17, 0x3ed4b147, v4
	v_fmamk_f32 v41, v19, 0x3ed4b147, v21
	v_add_f32_e32 v18, v1, v18
	v_add_f32_e32 v23, v0, v23
	;; [unrolled: 1-line block ×19, first 2 shown]
	v_fmamk_f32 v20, v9, 0x3f68dda4, v17
	v_mul_f32_e32 v22, 0xbf4178ce, v39
	v_add_f32_e32 v25, v41, v25
	v_fma_f32 v21, 0x3ed4b147, v19, -v21
	v_fmac_f32_e32 v17, 0xbf68dda4, v9
	v_mul_f32_e32 v41, 0xbf27a4f4, v4
	v_add_f32_e32 v18, v20, v18
	v_fmamk_f32 v20, v19, 0xbf27a4f4, v22
	v_add_f32_e32 v21, v21, v23
	v_add_f32_e32 v17, v17, v24
	v_mul_f32_e32 v23, 0x3e903f40, v39
	v_fmamk_f32 v24, v9, 0x3f4178ce, v41
	v_fma_f32 v22, 0xbf27a4f4, v19, -v22
	v_fmac_f32_e32 v41, 0xbf4178ce, v9
	v_mul_f32_e32 v42, 0xbf75a155, v4
	v_add_f32_e32 v20, v20, v26
	v_fmamk_f32 v26, v19, 0xbf75a155, v23
	v_add_f32_e32 v24, v24, v30
	v_add_f32_e32 v15, v22, v15
	;; [unrolled: 1-line block ×3, first 2 shown]
	v_fmamk_f32 v27, v9, 0xbe903f40, v42
	v_mul_f32_e32 v30, 0x3f7d64f0, v39
	v_add_f32_e32 v26, v26, v32
	v_fma_f32 v23, 0xbf75a155, v19, -v23
	v_mul_f32_e32 v32, 0xbe11bafb, v4
	v_add_f32_e32 v27, v27, v33
	v_fmamk_f32 v33, v19, 0xbe11bafb, v30
	v_mul_f32_e32 v39, 0x3f0a6770, v39
	v_fma_f32 v30, 0xbe11bafb, v19, -v30
	v_add_f32_e32 v23, v23, v29
	v_fmamk_f32 v29, v9, 0xbf7d64f0, v32
	v_add_f32_e32 v33, v33, v36
	v_fmac_f32_e32 v32, 0x3f7d64f0, v9
	v_fmamk_f32 v36, v19, 0x3f575c64, v39
	v_add_f32_e32 v30, v30, v34
	v_sub_f32_e32 v34, v5, v14
	v_add_f32_e32 v29, v29, v37
	v_mul_f32_e32 v4, 0x3f575c64, v4
	v_add_f32_e32 v32, v32, v35
	v_add_f32_e32 v35, v36, v38
	;; [unrolled: 1-line block ×3, first 2 shown]
	v_mul_f32_e32 v38, 0xbf7d64f0, v34
	v_add_f32_e32 v5, v5, v14
	v_fmac_f32_e32 v42, 0x3e903f40, v9
	v_fmamk_f32 v36, v9, 0xbf0a6770, v4
	v_fma_f32 v14, 0x3f575c64, v19, -v39
	v_fmac_f32_e32 v4, 0x3f0a6770, v9
	v_sub_f32_e32 v9, v44, v13
	v_fmamk_f32 v13, v37, 0xbe11bafb, v38
	v_mul_f32_e32 v19, 0xbe11bafb, v5
	v_add_f32_e32 v0, v14, v0
	v_add_f32_e32 v1, v4, v1
	v_mul_f32_e32 v14, 0x3e903f40, v34
	v_add_f32_e32 v4, v13, v25
	v_fmamk_f32 v13, v9, 0x3f7d64f0, v19
	v_fma_f32 v25, 0xbe11bafb, v37, -v38
	v_fmac_f32_e32 v19, 0xbf7d64f0, v9
	v_mul_f32_e32 v38, 0xbf75a155, v5
	v_mul_f32_e32 v39, 0x3f575c64, v5
	v_add_f32_e32 v13, v13, v18
	v_fmamk_f32 v18, v37, 0xbf75a155, v14
	v_add_f32_e32 v21, v25, v21
	v_add_f32_e32 v17, v19, v17
	v_fmamk_f32 v19, v9, 0xbe903f40, v38
	v_mul_f32_e32 v25, 0x3f68dda4, v34
	v_add_f32_e32 v18, v18, v20
	v_fma_f32 v14, 0xbf75a155, v37, -v14
	v_fmac_f32_e32 v38, 0x3e903f40, v9
	v_add_f32_e32 v19, v19, v24
	v_fmamk_f32 v20, v37, 0x3ed4b147, v25
	v_mul_f32_e32 v24, 0x3ed4b147, v5
	v_add_f32_e32 v14, v14, v15
	v_add_f32_e32 v15, v38, v22
	v_mul_f32_e32 v22, 0xbf0a6770, v34
	v_add_f32_e32 v20, v20, v26
	v_fmamk_f32 v26, v9, 0xbf68dda4, v24
	v_add_f32_e32 v31, v42, v31
	v_fmac_f32_e32 v24, 0x3f68dda4, v9
	v_fmamk_f32 v38, v37, 0x3f575c64, v22
	v_fma_f32 v22, 0x3f575c64, v37, -v22
	v_add_f32_e32 v26, v26, v27
	v_fmamk_f32 v27, v9, 0x3f0a6770, v39
	v_fmac_f32_e32 v39, 0xbf0a6770, v9
	v_fma_f32 v25, 0x3ed4b147, v37, -v25
	v_add_f32_e32 v24, v24, v31
	v_mul_f32_e32 v31, 0xbf4178ce, v34
	v_mul_f32_e32 v5, 0xbf27a4f4, v5
	v_add_f32_e32 v22, v22, v30
	v_add_f32_e32 v30, v39, v32
	v_sub_f32_e32 v32, v8, v12
	v_add_f32_e32 v8, v8, v12
	v_add_f32_e32 v23, v25, v23
	v_add_f32_e32 v25, v38, v33
	v_add_f32_e32 v27, v27, v29
	v_fmamk_f32 v29, v37, 0xbf27a4f4, v31
	v_fmamk_f32 v33, v9, 0x3f4178ce, v5
	v_add_f32_e32 v34, v6, v16
	v_mul_f32_e32 v12, 0xbf4178ce, v32
	v_fma_f32 v31, 0xbf27a4f4, v37, -v31
	v_fmac_f32_e32 v5, 0xbf4178ce, v9
	v_sub_f32_e32 v6, v6, v16
	v_mul_f32_e32 v9, 0xbf27a4f4, v8
	v_fmamk_f32 v16, v34, 0xbf27a4f4, v12
	v_add_f32_e32 v0, v31, v0
	v_add_f32_e32 v1, v5, v1
	v_mul_f32_e32 v5, 0x3f7d64f0, v32
	v_fmamk_f32 v31, v6, 0x3f4178ce, v9
	v_fmac_f32_e32 v9, 0xbf4178ce, v6
	v_add_f32_e32 v4, v16, v4
	v_fma_f32 v12, 0xbf27a4f4, v34, -v12
	v_fmamk_f32 v16, v34, 0xbe11bafb, v5
	v_add_f32_e32 v13, v31, v13
	v_mul_f32_e32 v31, 0xbe11bafb, v8
	v_add_f32_e32 v9, v9, v17
	v_mul_f32_e32 v17, 0xbf0a6770, v32
	v_add_f32_e32 v29, v29, v35
	v_add_f32_e32 v12, v12, v21
	;; [unrolled: 1-line block ×3, first 2 shown]
	v_fmamk_f32 v18, v6, 0xbf7d64f0, v31
	v_fma_f32 v5, 0xbe11bafb, v34, -v5
	v_mul_f32_e32 v21, 0x3f575c64, v8
	v_fmamk_f32 v35, v34, 0x3f575c64, v17
	v_fmac_f32_e32 v31, 0x3f7d64f0, v6
	v_add_f32_e32 v18, v18, v19
	v_add_f32_e32 v14, v5, v14
	v_fmamk_f32 v5, v6, 0x3f0a6770, v21
	v_add_f32_e32 v19, v35, v20
	v_mul_f32_e32 v20, 0xbe903f40, v32
	v_fma_f32 v17, 0x3f575c64, v34, -v17
	v_add_f32_e32 v15, v31, v15
	v_fmac_f32_e32 v21, 0xbf0a6770, v6
	v_add_f32_e32 v26, v5, v26
	v_mul_f32_e32 v5, 0xbf75a155, v8
	v_fmamk_f32 v31, v34, 0xbf75a155, v20
	v_add_f32_e32 v17, v17, v23
	v_mul_f32_e32 v23, 0x3f68dda4, v32
	v_add_f32_e32 v21, v21, v24
	v_fmamk_f32 v24, v6, 0x3e903f40, v5
	v_add_f32_e32 v25, v31, v25
	v_fma_f32 v20, 0xbf75a155, v34, -v20
	v_fmac_f32_e32 v5, 0xbe903f40, v6
	v_fmamk_f32 v31, v34, 0x3ed4b147, v23
	v_add_f32_e32 v36, v36, v40
	v_add_f32_e32 v24, v24, v27
	v_mul_f32_e32 v8, 0x3ed4b147, v8
	v_add_f32_e32 v20, v20, v22
	v_add_f32_e32 v22, v5, v30
	;; [unrolled: 1-line block ×3, first 2 shown]
	v_sub_f32_e32 v29, v10, v11
	v_add_f32_e32 v30, v10, v11
	v_add_f32_e32 v33, v33, v36
	v_fmamk_f32 v5, v6, 0xbf68dda4, v8
	v_add_f32_e32 v31, v7, v28
	v_mul_f32_e32 v10, 0xbe903f40, v29
	v_sub_f32_e32 v28, v7, v28
	v_mul_f32_e32 v7, 0xbf75a155, v30
	v_fmac_f32_e32 v8, 0x3f68dda4, v6
	v_add_f32_e32 v32, v5, v33
	v_fmamk_f32 v5, v31, 0xbf75a155, v10
	v_fma_f32 v23, 0x3ed4b147, v34, -v23
	v_fmamk_f32 v6, v28, 0x3e903f40, v7
	v_mul_f32_e32 v11, 0x3f0a6770, v29
	v_fmac_f32_e32 v7, 0xbe903f40, v28
	v_add_f32_e32 v4, v5, v4
	v_add_f32_e32 v0, v23, v0
	;; [unrolled: 1-line block ×3, first 2 shown]
	v_mul_f32_e32 v13, 0x3f575c64, v30
	v_add_f32_e32 v1, v8, v1
	v_fma_f32 v8, 0xbf75a155, v31, -v10
	v_fmamk_f32 v10, v31, 0x3f575c64, v11
	v_add_f32_e32 v7, v7, v9
	v_mul_f32_e32 v23, 0xbf4178ce, v29
	v_fmamk_f32 v9, v28, 0xbf0a6770, v13
	v_add_f32_e32 v6, v8, v12
	v_add_f32_e32 v8, v10, v16
	v_fma_f32 v10, 0x3f575c64, v31, -v11
	v_fmac_f32_e32 v13, 0x3f0a6770, v28
	v_fmamk_f32 v12, v31, 0xbf27a4f4, v23
	v_mul_f32_e32 v16, 0xbf27a4f4, v30
	v_add_f32_e32 v9, v9, v18
	v_mul_f32_e32 v18, 0x3f68dda4, v29
	v_add_f32_e32 v10, v10, v14
	v_add_f32_e32 v11, v13, v15
	;; [unrolled: 1-line block ×3, first 2 shown]
	v_fmamk_f32 v13, v28, 0x3f4178ce, v16
	v_fma_f32 v14, 0xbf27a4f4, v31, -v23
	v_fmac_f32_e32 v16, 0xbf4178ce, v28
	v_mul_f32_e32 v19, 0x3ed4b147, v30
	v_fmamk_f32 v23, v31, 0x3ed4b147, v18
	v_fma_f32 v18, 0x3ed4b147, v31, -v18
	v_add_f32_e32 v14, v14, v17
	v_add_f32_e32 v15, v16, v21
	v_fmamk_f32 v17, v28, 0xbf68dda4, v19
	v_add_f32_e32 v16, v23, v25
	v_mul_f32_e32 v21, 0xbf7d64f0, v29
	v_mul_f32_e32 v23, 0xbe11bafb, v30
	v_fmac_f32_e32 v19, 0x3f68dda4, v28
	v_add_f32_e32 v17, v17, v24
	v_add_f32_e32 v18, v18, v20
	v_fma_f32 v25, 0xbe11bafb, v31, -v21
	v_fmamk_f32 v24, v28, 0x3f7d64f0, v23
	v_fmac_f32_e32 v23, 0xbf7d64f0, v28
	v_fmamk_f32 v20, v31, 0xbe11bafb, v21
	v_add_f32_e32 v19, v19, v22
	v_add_f32_e32 v22, v25, v0
	ds_write_b64 v97, v[2:3]
	v_add_f32_e32 v23, v23, v1
	v_add_nc_u32_e32 v3, 0x400, v97
	v_add_nc_u32_e32 v2, 0x800, v97
	;; [unrolled: 1-line block ×4, first 2 shown]
	v_add_f32_e32 v13, v13, v26
	v_add_f32_e32 v20, v20, v27
	;; [unrolled: 1-line block ×3, first 2 shown]
	ds_write2_b64 v97, v[4:5], v[8:9] offset0:68 offset1:136
	ds_write2_b64 v3, v[12:13], v[16:17] offset0:76 offset1:144
	;; [unrolled: 1-line block ×5, first 2 shown]
	s_waitcnt lgkmcnt(0)
	s_barrier
	buffer_gl0_inv
	s_and_b32 exec_lo, exec_lo, vcc_lo
	s_cbranch_execz .LBB0_23
; %bb.22:
	global_load_dwordx2 v[4:5], v92, s[12:13]
	ds_read_b64 v[6:7], v97
	s_mov_b32 s0, 0xb8d015e7
	s_mov_b32 s1, 0x3f55e75b
	v_mad_u64_u32 v[10:11], null, s4, v93, 0
	s_mul_i32 s2, s5, 0x160
	s_mul_i32 s3, s4, 0x160
	s_waitcnt vmcnt(0) lgkmcnt(0)
	v_mul_f32_e32 v8, v7, v5
	v_mul_f32_e32 v5, v6, v5
	v_fmac_f32_e32 v8, v6, v4
	v_fma_f32 v6, v4, v7, -v5
	v_cvt_f64_f32_e32 v[4:5], v8
	v_cvt_f64_f32_e32 v[6:7], v6
	v_mad_u64_u32 v[8:9], null, s6, v60, 0
	s_mul_hi_u32 s6, s4, 0x160
	s_add_i32 s2, s6, s2
	v_add_co_u32 v15, s6, s12, v92
	v_add_co_ci_u32_e64 v16, null, s13, 0, s6
	v_mad_u64_u32 v[12:13], null, s7, v60, v[9:10]
	v_mad_u64_u32 v[13:14], null, s5, v93, v[11:12]
	v_mov_b32_e32 v9, v12
	v_mul_f64 v[4:5], v[4:5], s[0:1]
	v_mul_f64 v[6:7], v[6:7], s[0:1]
	v_mov_b32_e32 v11, v13
	v_cvt_f32_f64_e32 v4, v[4:5]
	v_cvt_f32_f64_e32 v5, v[6:7]
	v_lshlrev_b64 v[6:7], 3, v[8:9]
	v_lshlrev_b64 v[8:9], 3, v[10:11]
	v_add_co_u32 v13, vcc_lo, s14, v6
	v_add_co_ci_u32_e32 v14, vcc_lo, s15, v7, vcc_lo
	v_add_co_u32 v8, vcc_lo, v13, v8
	v_add_co_ci_u32_e32 v9, vcc_lo, v14, v9, vcc_lo
	global_store_dwordx2 v[8:9], v[4:5], off
	global_load_dwordx2 v[10:11], v92, s[12:13] offset:352
	ds_read2_b64 v[4:7], v97 offset0:44 offset1:88
	v_add_co_u32 v8, vcc_lo, v8, s3
	v_add_co_ci_u32_e32 v9, vcc_lo, s2, v9, vcc_lo
	s_waitcnt vmcnt(0) lgkmcnt(0)
	v_mul_f32_e32 v12, v5, v11
	v_mul_f32_e32 v11, v4, v11
	v_fmac_f32_e32 v12, v4, v10
	v_fma_f32 v10, v10, v5, -v11
	v_cvt_f64_f32_e32 v[4:5], v12
	v_cvt_f64_f32_e32 v[10:11], v10
	v_mul_f64 v[4:5], v[4:5], s[0:1]
	v_mul_f64 v[10:11], v[10:11], s[0:1]
	v_cvt_f32_f64_e32 v4, v[4:5]
	v_cvt_f32_f64_e32 v5, v[10:11]
	global_store_dwordx2 v[8:9], v[4:5], off
	global_load_dwordx2 v[4:5], v92, s[12:13] offset:704
	v_add_co_u32 v8, vcc_lo, v8, s3
	v_add_co_ci_u32_e32 v9, vcc_lo, s2, v9, vcc_lo
	s_waitcnt vmcnt(0)
	v_mul_f32_e32 v10, v7, v5
	v_mul_f32_e32 v5, v6, v5
	v_fmac_f32_e32 v10, v6, v4
	v_fma_f32 v6, v4, v7, -v5
	v_cvt_f64_f32_e32 v[4:5], v10
	v_cvt_f64_f32_e32 v[6:7], v6
	v_mul_f64 v[4:5], v[4:5], s[0:1]
	v_mul_f64 v[6:7], v[6:7], s[0:1]
	v_cvt_f32_f64_e32 v4, v[4:5]
	v_cvt_f32_f64_e32 v5, v[6:7]
	global_store_dwordx2 v[8:9], v[4:5], off
	global_load_dwordx2 v[10:11], v92, s[12:13] offset:1056
	ds_read2_b64 v[4:7], v97 offset0:132 offset1:176
	v_add_co_u32 v8, vcc_lo, v8, s3
	v_add_co_ci_u32_e32 v9, vcc_lo, s2, v9, vcc_lo
	s_waitcnt vmcnt(0) lgkmcnt(0)
	v_mul_f32_e32 v12, v5, v11
	v_mul_f32_e32 v11, v4, v11
	v_fmac_f32_e32 v12, v4, v10
	v_fma_f32 v10, v10, v5, -v11
	v_cvt_f64_f32_e32 v[4:5], v12
	v_cvt_f64_f32_e32 v[10:11], v10
	v_mul_f64 v[4:5], v[4:5], s[0:1]
	v_mul_f64 v[10:11], v[10:11], s[0:1]
	v_cvt_f32_f64_e32 v4, v[4:5]
	v_cvt_f32_f64_e32 v5, v[10:11]
	global_store_dwordx2 v[8:9], v[4:5], off
	global_load_dwordx2 v[4:5], v92, s[12:13] offset:1408
	s_waitcnt vmcnt(0)
	v_mul_f32_e32 v10, v7, v5
	v_mul_f32_e32 v5, v6, v5
	v_fmac_f32_e32 v10, v6, v4
	v_fma_f32 v6, v4, v7, -v5
	v_cvt_f64_f32_e32 v[4:5], v10
	v_cvt_f64_f32_e32 v[6:7], v6
	v_mul_f64 v[4:5], v[4:5], s[0:1]
	v_mul_f64 v[6:7], v[6:7], s[0:1]
	v_cvt_f32_f64_e32 v4, v[4:5]
	v_cvt_f32_f64_e32 v5, v[6:7]
	v_add_co_u32 v7, vcc_lo, v8, s3
	v_add_co_ci_u32_e32 v8, vcc_lo, s2, v9, vcc_lo
	global_store_dwordx2 v[7:8], v[4:5], off
	global_load_dwordx2 v[9:10], v92, s[12:13] offset:1760
	ds_read2_b64 v[3:6], v3 offset0:92 offset1:136
	v_add_co_u32 v7, vcc_lo, v7, s3
	v_add_co_ci_u32_e32 v8, vcc_lo, s2, v8, vcc_lo
	s_waitcnt vmcnt(0) lgkmcnt(0)
	v_mul_f32_e32 v11, v4, v10
	v_mul_f32_e32 v10, v3, v10
	v_fmac_f32_e32 v11, v3, v9
	v_fma_f32 v9, v9, v4, -v10
	v_cvt_f64_f32_e32 v[3:4], v11
	v_cvt_f64_f32_e32 v[9:10], v9
	v_mul_f64 v[3:4], v[3:4], s[0:1]
	v_mul_f64 v[9:10], v[9:10], s[0:1]
	v_cvt_f32_f64_e32 v3, v[3:4]
	v_cvt_f32_f64_e32 v4, v[9:10]
	v_add_co_u32 v9, vcc_lo, 0x800, v15
	v_add_co_ci_u32_e32 v10, vcc_lo, 0, v16, vcc_lo
	global_store_dwordx2 v[7:8], v[3:4], off
	global_load_dwordx2 v[3:4], v[9:10], off offset:64
	v_add_co_u32 v7, vcc_lo, v7, s3
	v_add_co_ci_u32_e32 v8, vcc_lo, s2, v8, vcc_lo
	s_waitcnt vmcnt(0)
	v_mul_f32_e32 v11, v6, v4
	v_mul_f32_e32 v4, v5, v4
	v_fmac_f32_e32 v11, v5, v3
	v_fma_f32 v5, v3, v6, -v4
	v_cvt_f64_f32_e32 v[3:4], v11
	v_cvt_f64_f32_e32 v[5:6], v5
	v_mul_f64 v[3:4], v[3:4], s[0:1]
	v_mul_f64 v[5:6], v[5:6], s[0:1]
	v_cvt_f32_f64_e32 v3, v[3:4]
	v_cvt_f32_f64_e32 v4, v[5:6]
	global_store_dwordx2 v[7:8], v[3:4], off
	global_load_dwordx2 v[11:12], v[9:10], off offset:416
	ds_read2_b64 v[3:6], v2 offset0:52 offset1:96
	v_add_co_u32 v7, vcc_lo, v7, s3
	v_add_co_ci_u32_e32 v8, vcc_lo, s2, v8, vcc_lo
	s_waitcnt vmcnt(0) lgkmcnt(0)
	v_mul_f32_e32 v17, v4, v12
	v_mul_f32_e32 v12, v3, v12
	v_fmac_f32_e32 v17, v3, v11
	v_fma_f32 v11, v11, v4, -v12
	v_cvt_f64_f32_e32 v[3:4], v17
	v_cvt_f64_f32_e32 v[11:12], v11
	v_mul_f64 v[3:4], v[3:4], s[0:1]
	v_mul_f64 v[11:12], v[11:12], s[0:1]
	v_cvt_f32_f64_e32 v3, v[3:4]
	v_cvt_f32_f64_e32 v4, v[11:12]
	global_store_dwordx2 v[7:8], v[3:4], off
	global_load_dwordx2 v[3:4], v[9:10], off offset:768
	s_waitcnt vmcnt(0)
	v_mul_f32_e32 v11, v6, v4
	v_mul_f32_e32 v4, v5, v4
	v_fmac_f32_e32 v11, v5, v3
	v_fma_f32 v5, v3, v6, -v4
	v_cvt_f64_f32_e32 v[3:4], v11
	v_cvt_f64_f32_e32 v[5:6], v5
	v_mul_f64 v[3:4], v[3:4], s[0:1]
	v_mul_f64 v[5:6], v[5:6], s[0:1]
	v_cvt_f32_f64_e32 v3, v[3:4]
	v_cvt_f32_f64_e32 v4, v[5:6]
	v_add_co_u32 v6, vcc_lo, v7, s3
	v_add_co_ci_u32_e32 v7, vcc_lo, s2, v8, vcc_lo
	global_store_dwordx2 v[6:7], v[3:4], off
	global_load_dwordx2 v[11:12], v[9:10], off offset:1120
	ds_read2_b64 v[2:5], v2 offset0:140 offset1:184
	v_add_co_u32 v6, vcc_lo, v6, s3
	v_add_co_ci_u32_e32 v7, vcc_lo, s2, v7, vcc_lo
	s_waitcnt vmcnt(0) lgkmcnt(0)
	v_mul_f32_e32 v8, v3, v12
	v_mul_f32_e32 v12, v2, v12
	v_fmac_f32_e32 v8, v2, v11
	v_fma_f32 v11, v11, v3, -v12
	v_cvt_f64_f32_e32 v[2:3], v8
	v_cvt_f64_f32_e32 v[11:12], v11
	v_mul_f64 v[2:3], v[2:3], s[0:1]
	v_mul_f64 v[11:12], v[11:12], s[0:1]
	v_cvt_f32_f64_e32 v2, v[2:3]
	v_cvt_f32_f64_e32 v3, v[11:12]
	global_store_dwordx2 v[6:7], v[2:3], off
	global_load_dwordx2 v[2:3], v[9:10], off offset:1472
	s_waitcnt vmcnt(0)
	v_mul_f32_e32 v8, v5, v3
	v_mul_f32_e32 v3, v4, v3
	v_fmac_f32_e32 v8, v4, v2
	v_fma_f32 v4, v2, v5, -v3
	v_cvt_f64_f32_e32 v[2:3], v8
	v_cvt_f64_f32_e32 v[4:5], v4
	v_mul_f64 v[2:3], v[2:3], s[0:1]
	v_mul_f64 v[4:5], v[4:5], s[0:1]
	v_cvt_f32_f64_e32 v2, v[2:3]
	v_cvt_f32_f64_e32 v3, v[4:5]
	v_add_co_u32 v5, vcc_lo, v6, s3
	v_add_co_ci_u32_e32 v6, vcc_lo, s2, v7, vcc_lo
	global_store_dwordx2 v[5:6], v[2:3], off
	global_load_dwordx2 v[7:8], v[9:10], off offset:1824
	ds_read2_b64 v[1:4], v1 offset0:100 offset1:144
	v_add_co_u32 v5, vcc_lo, v5, s3
	v_add_co_ci_u32_e32 v6, vcc_lo, s2, v6, vcc_lo
	s_waitcnt vmcnt(0) lgkmcnt(0)
	v_mul_f32_e32 v9, v2, v8
	v_mul_f32_e32 v8, v1, v8
	v_fmac_f32_e32 v9, v1, v7
	v_fma_f32 v7, v7, v2, -v8
	v_cvt_f64_f32_e32 v[1:2], v9
	v_cvt_f64_f32_e32 v[7:8], v7
	v_mul_f64 v[1:2], v[1:2], s[0:1]
	v_mul_f64 v[7:8], v[7:8], s[0:1]
	v_cvt_f32_f64_e32 v1, v[1:2]
	v_cvt_f32_f64_e32 v2, v[7:8]
	v_add_co_u32 v7, vcc_lo, 0x1000, v15
	v_add_co_ci_u32_e32 v8, vcc_lo, 0, v16, vcc_lo
	global_store_dwordx2 v[5:6], v[1:2], off
	global_load_dwordx2 v[1:2], v[7:8], off offset:128
	v_add_co_u32 v5, vcc_lo, v5, s3
	v_add_co_ci_u32_e32 v6, vcc_lo, s2, v6, vcc_lo
	s_waitcnt vmcnt(0)
	v_mul_f32_e32 v9, v4, v2
	v_mul_f32_e32 v2, v3, v2
	v_fmac_f32_e32 v9, v3, v1
	v_fma_f32 v3, v1, v4, -v2
	v_cvt_f64_f32_e32 v[1:2], v9
	v_cvt_f64_f32_e32 v[3:4], v3
	v_mul_f64 v[1:2], v[1:2], s[0:1]
	v_mul_f64 v[3:4], v[3:4], s[0:1]
	v_cvt_f32_f64_e32 v1, v[1:2]
	v_cvt_f32_f64_e32 v2, v[3:4]
	global_store_dwordx2 v[5:6], v[1:2], off
	global_load_dwordx2 v[9:10], v[7:8], off offset:480
	ds_read2_b64 v[1:4], v0 offset0:60 offset1:104
	v_add_co_u32 v5, vcc_lo, v5, s3
	v_add_co_ci_u32_e32 v6, vcc_lo, s2, v6, vcc_lo
	s_waitcnt vmcnt(0) lgkmcnt(0)
	v_mul_f32_e32 v11, v2, v10
	v_mul_f32_e32 v10, v1, v10
	v_fmac_f32_e32 v11, v1, v9
	v_fma_f32 v9, v9, v2, -v10
	v_cvt_f64_f32_e32 v[1:2], v11
	v_cvt_f64_f32_e32 v[9:10], v9
	v_mul_f64 v[1:2], v[1:2], s[0:1]
	v_mul_f64 v[9:10], v[9:10], s[0:1]
	v_cvt_f32_f64_e32 v1, v[1:2]
	v_cvt_f32_f64_e32 v2, v[9:10]
	global_store_dwordx2 v[5:6], v[1:2], off
	global_load_dwordx2 v[1:2], v[7:8], off offset:832
	s_waitcnt vmcnt(0)
	v_mul_f32_e32 v9, v4, v2
	v_mul_f32_e32 v2, v3, v2
	v_fmac_f32_e32 v9, v3, v1
	v_fma_f32 v3, v1, v4, -v2
	v_cvt_f64_f32_e32 v[1:2], v9
	v_cvt_f64_f32_e32 v[3:4], v3
	v_mul_f64 v[1:2], v[1:2], s[0:1]
	v_mul_f64 v[3:4], v[3:4], s[0:1]
	v_cvt_f32_f64_e32 v1, v[1:2]
	v_cvt_f32_f64_e32 v2, v[3:4]
	v_add_co_u32 v4, vcc_lo, v5, s3
	v_add_co_ci_u32_e32 v5, vcc_lo, s2, v6, vcc_lo
	global_store_dwordx2 v[4:5], v[1:2], off
	global_load_dwordx2 v[6:7], v[7:8], off offset:1184
	ds_read2_b64 v[0:3], v0 offset0:148 offset1:192
	v_add_co_u32 v4, vcc_lo, v4, s3
	v_add_co_ci_u32_e32 v5, vcc_lo, s2, v5, vcc_lo
	s_waitcnt vmcnt(0) lgkmcnt(0)
	v_mul_f32_e32 v8, v1, v7
	v_mul_f32_e32 v7, v0, v7
	v_fmac_f32_e32 v8, v0, v6
	v_fma_f32 v6, v6, v1, -v7
	v_cvt_f64_f32_e32 v[0:1], v8
	v_cvt_f64_f32_e32 v[6:7], v6
	v_mul_f64 v[0:1], v[0:1], s[0:1]
	v_mul_f64 v[6:7], v[6:7], s[0:1]
	v_cvt_f32_f64_e32 v0, v[0:1]
	v_cvt_f32_f64_e32 v1, v[6:7]
	v_lshlrev_b32_e32 v6, 3, v91
	global_store_dwordx2 v[4:5], v[0:1], off
	global_load_dwordx2 v[0:1], v6, s[12:13]
	s_waitcnt vmcnt(0)
	v_mul_f32_e32 v4, v3, v1
	v_mul_f32_e32 v1, v2, v1
	v_fmac_f32_e32 v4, v2, v0
	v_fma_f32 v2, v0, v3, -v1
	v_cvt_f64_f32_e32 v[0:1], v4
	v_cvt_f64_f32_e32 v[2:3], v2
	v_mad_u64_u32 v[4:5], null, s4, v91, 0
	v_mad_u64_u32 v[5:6], null, s5, v91, v[5:6]
	v_mul_f64 v[0:1], v[0:1], s[0:1]
	v_mul_f64 v[2:3], v[2:3], s[0:1]
	v_cvt_f32_f64_e32 v0, v[0:1]
	v_cvt_f32_f64_e32 v1, v[2:3]
	v_lshlrev_b64 v[2:3], 3, v[4:5]
	v_add_co_u32 v2, vcc_lo, v13, v2
	v_add_co_ci_u32_e32 v3, vcc_lo, v14, v3, vcc_lo
	global_store_dwordx2 v[2:3], v[0:1], off
.LBB0_23:
	s_endpgm
	.section	.rodata,"a",@progbits
	.p2align	6, 0x0
	.amdhsa_kernel bluestein_single_back_len748_dim1_sp_op_CI_CI
		.amdhsa_group_segment_fixed_size 17952
		.amdhsa_private_segment_fixed_size 0
		.amdhsa_kernarg_size 104
		.amdhsa_user_sgpr_count 6
		.amdhsa_user_sgpr_private_segment_buffer 1
		.amdhsa_user_sgpr_dispatch_ptr 0
		.amdhsa_user_sgpr_queue_ptr 0
		.amdhsa_user_sgpr_kernarg_segment_ptr 1
		.amdhsa_user_sgpr_dispatch_id 0
		.amdhsa_user_sgpr_flat_scratch_init 0
		.amdhsa_user_sgpr_private_segment_size 0
		.amdhsa_wavefront_size32 1
		.amdhsa_uses_dynamic_stack 0
		.amdhsa_system_sgpr_private_segment_wavefront_offset 0
		.amdhsa_system_sgpr_workgroup_id_x 1
		.amdhsa_system_sgpr_workgroup_id_y 0
		.amdhsa_system_sgpr_workgroup_id_z 0
		.amdhsa_system_sgpr_workgroup_info 0
		.amdhsa_system_vgpr_workitem_id 0
		.amdhsa_next_free_vgpr 256
		.amdhsa_next_free_sgpr 16
		.amdhsa_reserve_vcc 1
		.amdhsa_reserve_flat_scratch 0
		.amdhsa_float_round_mode_32 0
		.amdhsa_float_round_mode_16_64 0
		.amdhsa_float_denorm_mode_32 3
		.amdhsa_float_denorm_mode_16_64 3
		.amdhsa_dx10_clamp 1
		.amdhsa_ieee_mode 1
		.amdhsa_fp16_overflow 0
		.amdhsa_workgroup_processor_mode 1
		.amdhsa_memory_ordered 1
		.amdhsa_forward_progress 0
		.amdhsa_shared_vgpr_count 0
		.amdhsa_exception_fp_ieee_invalid_op 0
		.amdhsa_exception_fp_denorm_src 0
		.amdhsa_exception_fp_ieee_div_zero 0
		.amdhsa_exception_fp_ieee_overflow 0
		.amdhsa_exception_fp_ieee_underflow 0
		.amdhsa_exception_fp_ieee_inexact 0
		.amdhsa_exception_int_div_zero 0
	.end_amdhsa_kernel
	.text
.Lfunc_end0:
	.size	bluestein_single_back_len748_dim1_sp_op_CI_CI, .Lfunc_end0-bluestein_single_back_len748_dim1_sp_op_CI_CI
                                        ; -- End function
	.section	.AMDGPU.csdata,"",@progbits
; Kernel info:
; codeLenInByte = 20736
; NumSgprs: 18
; NumVgprs: 256
; ScratchSize: 0
; MemoryBound: 0
; FloatMode: 240
; IeeeMode: 1
; LDSByteSize: 17952 bytes/workgroup (compile time only)
; SGPRBlocks: 2
; VGPRBlocks: 31
; NumSGPRsForWavesPerEU: 18
; NumVGPRsForWavesPerEU: 256
; Occupancy: 4
; WaveLimiterHint : 1
; COMPUTE_PGM_RSRC2:SCRATCH_EN: 0
; COMPUTE_PGM_RSRC2:USER_SGPR: 6
; COMPUTE_PGM_RSRC2:TRAP_HANDLER: 0
; COMPUTE_PGM_RSRC2:TGID_X_EN: 1
; COMPUTE_PGM_RSRC2:TGID_Y_EN: 0
; COMPUTE_PGM_RSRC2:TGID_Z_EN: 0
; COMPUTE_PGM_RSRC2:TIDIG_COMP_CNT: 0
	.text
	.p2alignl 6, 3214868480
	.fill 48, 4, 3214868480
	.type	__hip_cuid_fbaeb9aa03618b0c,@object ; @__hip_cuid_fbaeb9aa03618b0c
	.section	.bss,"aw",@nobits
	.globl	__hip_cuid_fbaeb9aa03618b0c
__hip_cuid_fbaeb9aa03618b0c:
	.byte	0                               ; 0x0
	.size	__hip_cuid_fbaeb9aa03618b0c, 1

	.ident	"AMD clang version 19.0.0git (https://github.com/RadeonOpenCompute/llvm-project roc-6.4.0 25133 c7fe45cf4b819c5991fe208aaa96edf142730f1d)"
	.section	".note.GNU-stack","",@progbits
	.addrsig
	.addrsig_sym __hip_cuid_fbaeb9aa03618b0c
	.amdgpu_metadata
---
amdhsa.kernels:
  - .args:
      - .actual_access:  read_only
        .address_space:  global
        .offset:         0
        .size:           8
        .value_kind:     global_buffer
      - .actual_access:  read_only
        .address_space:  global
        .offset:         8
        .size:           8
        .value_kind:     global_buffer
      - .actual_access:  read_only
        .address_space:  global
        .offset:         16
        .size:           8
        .value_kind:     global_buffer
      - .actual_access:  read_only
        .address_space:  global
        .offset:         24
        .size:           8
        .value_kind:     global_buffer
      - .actual_access:  read_only
        .address_space:  global
        .offset:         32
        .size:           8
        .value_kind:     global_buffer
      - .offset:         40
        .size:           8
        .value_kind:     by_value
      - .address_space:  global
        .offset:         48
        .size:           8
        .value_kind:     global_buffer
      - .address_space:  global
        .offset:         56
        .size:           8
        .value_kind:     global_buffer
      - .address_space:  global
        .offset:         64
        .size:           8
        .value_kind:     global_buffer
      - .address_space:  global
        .offset:         72
        .size:           8
        .value_kind:     global_buffer
      - .offset:         80
        .size:           4
        .value_kind:     by_value
      - .address_space:  global
        .offset:         88
        .size:           8
        .value_kind:     global_buffer
      - .address_space:  global
        .offset:         96
        .size:           8
        .value_kind:     global_buffer
    .group_segment_fixed_size: 17952
    .kernarg_segment_align: 8
    .kernarg_segment_size: 104
    .language:       OpenCL C
    .language_version:
      - 2
      - 0
    .max_flat_workgroup_size: 204
    .name:           bluestein_single_back_len748_dim1_sp_op_CI_CI
    .private_segment_fixed_size: 0
    .sgpr_count:     18
    .sgpr_spill_count: 0
    .symbol:         bluestein_single_back_len748_dim1_sp_op_CI_CI.kd
    .uniform_work_group_size: 1
    .uses_dynamic_stack: false
    .vgpr_count:     256
    .vgpr_spill_count: 0
    .wavefront_size: 32
    .workgroup_processor_mode: 1
amdhsa.target:   amdgcn-amd-amdhsa--gfx1030
amdhsa.version:
  - 1
  - 2
...

	.end_amdgpu_metadata
